;; amdgpu-corpus repo=zjin-lcf/HeCBench kind=compiled arch=gfx950 opt=O3
	.amdgcn_target "amdgcn-amd-amdhsa--gfx950"
	.amdhsa_code_object_version 6
	.section	.text._Z30addBiasResidualPostLayerNormV2IfLi64EEvPT_PKS0_S3_S3_S3_fi,"axG",@progbits,_Z30addBiasResidualPostLayerNormV2IfLi64EEvPT_PKS0_S3_S3_S3_fi,comdat
	.protected	_Z30addBiasResidualPostLayerNormV2IfLi64EEvPT_PKS0_S3_S3_S3_fi ; -- Begin function _Z30addBiasResidualPostLayerNormV2IfLi64EEvPT_PKS0_S3_S3_S3_fi
	.globl	_Z30addBiasResidualPostLayerNormV2IfLi64EEvPT_PKS0_S3_S3_S3_fi
	.p2align	8
	.type	_Z30addBiasResidualPostLayerNormV2IfLi64EEvPT_PKS0_S3_S3_S3_fi,@function
_Z30addBiasResidualPostLayerNormV2IfLi64EEvPT_PKS0_S3_S3_S3_fi: ; @_Z30addBiasResidualPostLayerNormV2IfLi64EEvPT_PKS0_S3_S3_S3_fi
; %bb.0:
	s_load_dwordx2 s[16:17], s[0:1], 0x28
	s_load_dword s3, s[0:1], 0x3c
	s_load_dwordx4 s[8:11], s[0:1], 0x0
	s_load_dwordx2 s[6:7], s[0:1], 0x10
	s_add_u32 s4, s0, 48
	s_waitcnt lgkmcnt(0)
	s_mul_i32 s2, s17, s2
	s_addc_u32 s5, s1, 0
	s_and_b32 s12, s3, 0xffff
	s_lshr_b32 s3, s2, 31
	s_add_i32 s2, s2, s3
	s_ashr_i32 s2, s2, 1
	v_add_u32_e32 v4, s2, v0
	v_add_u32_e32 v16, s12, v4
	v_ashrrev_i32_e32 v17, 31, v16
	v_lshlrev_b64 v[18:19], 3, v[16:17]
	v_add_u32_e32 v16, s12, v16
	v_ashrrev_i32_e32 v17, 31, v16
	v_lshlrev_b64 v[24:25], 3, v[16:17]
	v_add_u32_e32 v16, s12, v16
	v_ashrrev_i32_e32 v5, 31, v4
	v_ashrrev_i32_e32 v17, 31, v16
	v_lshlrev_b64 v[6:7], 3, v[4:5]
	v_lshlrev_b64 v[16:17], 3, v[16:17]
	v_lshl_add_u64 v[2:3], s[8:9], 0, v[6:7]
	v_lshl_add_u64 v[6:7], s[10:11], 0, v[6:7]
	v_lshl_add_u64 v[20:21], s[8:9], 0, v[18:19]
	v_lshl_add_u64 v[18:19], s[10:11], 0, v[18:19]
	v_lshl_add_u64 v[30:31], s[8:9], 0, v[16:17]
	v_lshl_add_u64 v[16:17], s[10:11], 0, v[16:17]
	global_load_dwordx2 v[10:11], v[6:7], off
	global_load_dwordx2 v[8:9], v[2:3], off
	s_mov_b32 s3, 0
	global_load_dwordx2 v[18:19], v[18:19], off
	s_lshl_b32 s2, s12, 3
	global_load_dwordx2 v[16:17], v[16:17], off
	v_mov_b32_e32 v7, 0
	v_lshlrev_b32_e32 v6, 3, v0
	v_lshl_add_u64 v[12:13], s[6:7], 0, v[6:7]
	global_load_dwordx2 v[14:15], v6, s[6:7]
	v_lshl_add_u64 v[12:13], v[12:13], 0, s[2:3]
	global_load_dwordx2 v[20:21], v[20:21], off
	v_lshl_add_u64 v[26:27], s[8:9], 0, v[24:25]
	v_lshl_add_u64 v[24:25], s[10:11], 0, v[24:25]
	global_load_dwordx2 v[22:23], v[12:13], off
	v_lshl_add_u64 v[12:13], v[12:13], 0, s[2:3]
	global_load_dwordx2 v[26:27], v[26:27], off
	v_mbcnt_lo_u32_b32 v1, -1, 0
	global_load_dwordx2 v[24:25], v[24:25], off
	v_mbcnt_hi_u32_b32 v1, -1, v1
	global_load_dwordx2 v[28:29], v[12:13], off
	v_lshl_add_u64 v[12:13], v[12:13], 0, s[2:3]
	global_load_dwordx2 v[30:31], v[30:31], off
	v_and_b32_e32 v5, 64, v1
	global_load_dwordx2 v[32:33], v[12:13], off
	v_xor_b32_e32 v12, 32, v1
	v_add_u32_e32 v34, 64, v5
	v_cmp_lt_i32_e32 vcc, v12, v34
	s_waitcnt vmcnt(10)
	v_pk_add_f32 v[8:9], v[8:9], v[10:11]
	v_cndmask_b32_e32 v5, v1, v12, vcc
	v_lshlrev_b32_e32 v5, 2, v5
	s_waitcnt vmcnt(7)
	v_pk_add_f32 v[8:9], v[8:9], v[14:15]
	s_nop 0
	v_pk_add_f32 v[12:13], v[8:9], 0 op_sel_hi:[1,0]
	s_waitcnt vmcnt(6)
	v_pk_add_f32 v[10:11], v[20:21], v[18:19]
	s_waitcnt vmcnt(3)
	v_pk_add_f32 v[14:15], v[26:27], v[24:25]
	v_pk_add_f32 v[10:11], v[10:11], v[22:23]
	v_xor_b32_e32 v22, 1, v1
	v_pk_add_f32 v[18:19], v[10:11], v[12:13]
	s_waitcnt vmcnt(2)
	v_pk_add_f32 v[12:13], v[14:15], v[28:29]
	s_waitcnt vmcnt(1)
	v_pk_add_f32 v[14:15], v[30:31], v[16:17]
	v_pk_add_f32 v[16:17], v[12:13], v[18:19]
	s_waitcnt vmcnt(0)
	v_pk_add_f32 v[14:15], v[14:15], v[32:33]
	s_nop 0
	v_pk_add_f32 v[16:17], v[14:15], v[16:17]
	s_nop 0
	v_add_f32_e32 v17, v16, v17
	ds_bpermute_b32 v18, v5, v17
	v_xor_b32_e32 v16, 16, v1
	v_cmp_lt_i32_e32 vcc, v16, v34
	s_waitcnt lgkmcnt(0)
	v_add_f32_e32 v18, v17, v18
	v_cndmask_b32_e32 v16, v1, v16, vcc
	v_lshlrev_b32_e32 v16, 2, v16
	ds_bpermute_b32 v19, v16, v18
	v_xor_b32_e32 v17, 8, v1
	v_cmp_lt_i32_e32 vcc, v17, v34
	s_waitcnt lgkmcnt(0)
	v_add_f32_e32 v19, v18, v19
	v_cndmask_b32_e32 v17, v1, v17, vcc
	v_lshlrev_b32_e32 v17, 2, v17
	;; [unrolled: 7-line block ×4, first 2 shown]
	ds_bpermute_b32 v21, v19, v20
	v_cmp_lt_i32_e32 vcc, v22, v34
	s_nop 1
	v_cndmask_b32_e32 v1, v1, v22, vcc
	s_waitcnt lgkmcnt(0)
	v_add_f32_e32 v22, v20, v21
	v_lshlrev_b32_e32 v20, 2, v1
	ds_bpermute_b32 v23, v20, v22
	v_and_b32_e32 v1, 63, v0
	v_cmp_eq_u32_e64 s[2:3], 0, v1
	v_lshrrev_b32_e32 v21, 4, v0
	s_and_saveexec_b64 s[6:7], s[2:3]
	s_cbranch_execz .LBB0_2
; %bb.1:
	s_waitcnt lgkmcnt(0)
	v_add_f32_e32 v22, v22, v23
	ds_write_b32 v21, v22
.LBB0_2:
	s_or_b64 exec, exec, s[6:7]
	s_waitcnt lgkmcnt(0)
	s_barrier
	s_load_dword s18, s[4:5], 0xc
	v_lshlrev_b32_e32 v22, 2, v1
	s_waitcnt lgkmcnt(0)
	s_bfe_u32 s4, s18, 0xa0006
	v_cmp_gt_u32_e64 s[4:5], s4, v0
	s_and_saveexec_b64 s[6:7], s[4:5]
; %bb.3:
	ds_read_b32 v7, v22
; %bb.4:
	s_or_b64 exec, exec, s[6:7]
	s_waitcnt lgkmcnt(0)
	ds_bpermute_b32 v1, v5, v7
	v_cmp_eq_u32_e64 s[6:7], 0, v0
	s_waitcnt lgkmcnt(0)
	v_add_f32_e32 v1, v7, v1
	ds_bpermute_b32 v7, v16, v1
	s_waitcnt lgkmcnt(0)
	v_add_f32_e32 v1, v1, v7
	ds_bpermute_b32 v7, v17, v1
	;; [unrolled: 3-line block ×5, first 2 shown]
	v_cvt_f32_i32_e32 v7, s17
	s_and_saveexec_b64 s[10:11], s[6:7]
	s_cbranch_execz .LBB0_6
; %bb.5:
	s_waitcnt lgkmcnt(0)
	v_add_f32_e32 v0, v1, v23
	v_div_scale_f32 v1, s[12:13], v7, v7, v0
	v_rcp_f32_e32 v23, v1
	v_div_scale_f32 v24, vcc, v0, v7, v0
	v_fma_f32 v25, -v1, v23, 1.0
	v_fmac_f32_e32 v23, v25, v23
	v_mul_f32_e32 v25, v24, v23
	v_fma_f32 v26, -v1, v25, v24
	v_fmac_f32_e32 v25, v26, v23
	v_fma_f32 v1, -v1, v25, v24
	v_div_fmas_f32 v1, v1, v23, v25
	v_div_fixup_f32 v0, v1, v7, v0
	v_mov_b32_e32 v1, 0
	ds_write_b32 v1, v0 offset:68
.LBB0_6:
	s_or_b64 exec, exec, s[10:11]
	s_waitcnt lgkmcnt(0)
	v_mov_b32_e32 v23, 0
	s_barrier
	ds_read_b32 v24, v23 offset:68
	s_waitcnt lgkmcnt(0)
	v_pk_add_f32 v[0:1], v[8:9], v[24:25] op_sel_hi:[1,0] neg_lo:[0,1] neg_hi:[0,1]
	v_pk_add_f32 v[8:9], v[10:11], v[24:25] op_sel_hi:[1,0] neg_lo:[0,1] neg_hi:[0,1]
	v_pk_mul_f32 v[26:27], v[0:1], v[0:1]
	v_pk_mul_f32 v[28:29], v[8:9], v[8:9]
	v_pk_add_f32 v[10:11], v[12:13], v[24:25] op_sel_hi:[1,0] neg_lo:[0,1] neg_hi:[0,1]
	v_pk_add_f32 v[12:13], v[14:15], v[24:25] op_sel_hi:[1,0] neg_lo:[0,1] neg_hi:[0,1]
	v_pk_mul_f32 v[30:31], v[10:11], v[10:11]
	v_add_f32_e32 v24, v28, v29
	v_add_f32_e32 v25, v26, v27
	v_pk_mul_f32 v[14:15], v[12:13], v[12:13]
	v_add_f32_e32 v24, v25, v24
	v_add_f32_e32 v25, v30, v31
	;; [unrolled: 1-line block ×5, first 2 shown]
	ds_bpermute_b32 v15, v5, v14
	s_waitcnt lgkmcnt(0)
	v_add_f32_e32 v14, v14, v15
	ds_bpermute_b32 v15, v16, v14
	s_waitcnt lgkmcnt(0)
	v_add_f32_e32 v14, v14, v15
	ds_bpermute_b32 v15, v17, v14
	s_waitcnt lgkmcnt(0)
	v_add_f32_e32 v14, v14, v15
	ds_bpermute_b32 v15, v18, v14
	s_waitcnt lgkmcnt(0)
	v_add_f32_e32 v14, v14, v15
	ds_bpermute_b32 v15, v19, v14
	s_waitcnt lgkmcnt(0)
	v_add_f32_e32 v14, v14, v15
	ds_bpermute_b32 v15, v20, v14
	s_and_saveexec_b64 s[10:11], s[2:3]
	s_cbranch_execz .LBB0_8
; %bb.7:
	s_waitcnt lgkmcnt(0)
	v_add_f32_e32 v14, v14, v15
	ds_write_b32 v21, v14
.LBB0_8:
	s_or_b64 exec, exec, s[10:11]
	s_load_dwordx4 s[12:15], s[0:1], 0x18
	s_waitcnt lgkmcnt(0)
	s_barrier
	s_and_saveexec_b64 s[0:1], s[4:5]
; %bb.9:
	ds_read_b32 v23, v22
; %bb.10:
	s_or_b64 exec, exec, s[0:1]
	s_waitcnt lgkmcnt(0)
	ds_bpermute_b32 v5, v5, v23
	s_waitcnt lgkmcnt(0)
	v_add_f32_e32 v5, v23, v5
	ds_bpermute_b32 v14, v16, v5
	s_waitcnt lgkmcnt(0)
	v_add_f32_e32 v5, v5, v14
	;; [unrolled: 3-line block ×5, first 2 shown]
	ds_bpermute_b32 v14, v20, v5
	s_and_saveexec_b64 s[0:1], s[6:7]
	s_cbranch_execz .LBB0_12
; %bb.11:
	s_waitcnt lgkmcnt(0)
	v_add_f32_e32 v5, v5, v14
	v_div_scale_f32 v14, s[2:3], v7, v7, v5
	v_rcp_f32_e32 v15, v14
	v_div_scale_f32 v16, vcc, v5, v7, v5
	s_mov_b32 s2, 0x800000
	v_fma_f32 v17, -v14, v15, 1.0
	v_fmac_f32_e32 v15, v17, v15
	v_mul_f32_e32 v17, v16, v15
	v_fma_f32 v18, -v14, v17, v16
	v_fmac_f32_e32 v17, v18, v15
	v_fma_f32 v14, -v14, v17, v16
	v_div_fmas_f32 v14, v14, v15, v17
	v_div_fixup_f32 v5, v14, v7, v5
	v_add_f32_e32 v5, s16, v5
	v_mul_f32_e32 v7, 0x4b800000, v5
	v_cmp_gt_f32_e32 vcc, s2, v5
	s_nop 1
	v_cndmask_b32_e32 v5, v5, v7, vcc
	v_rsq_f32_e32 v5, v5
	s_nop 0
	v_mul_f32_e32 v7, 0x45800000, v5
	v_cndmask_b32_e32 v5, v5, v7, vcc
	v_mov_b32_e32 v7, 0
	ds_write_b32 v7, v5 offset:64
.LBB0_12:
	s_or_b64 exec, exec, s[0:1]
	s_and_b32 s2, 0xffff, s18
	v_mov_b32_e32 v7, 0
	s_mov_b32 s1, 0
	s_waitcnt lgkmcnt(0)
	v_lshl_add_u64 v[14:15], s[12:13], 0, v[6:7]
	v_lshl_add_u64 v[16:17], s[14:15], 0, v[6:7]
	s_lshl_b32 s0, s2, 3
	s_barrier
	global_load_dwordx2 v[18:19], v6, s[12:13]
	global_load_dwordx2 v[20:21], v6, s[14:15]
	v_lshl_add_u64 v[14:15], v[14:15], 0, s[0:1]
	v_lshl_add_u64 v[16:17], v[16:17], 0, s[0:1]
	global_load_dwordx2 v[22:23], v[14:15], off
	global_load_dwordx2 v[24:25], v[16:17], off
	v_lshl_add_u64 v[14:15], v[14:15], 0, s[0:1]
	v_lshl_add_u64 v[16:17], v[16:17], 0, s[0:1]
	global_load_dwordx2 v[26:27], v[14:15], off
	global_load_dwordx2 v[28:29], v[16:17], off
	v_lshl_add_u64 v[14:15], v[14:15], 0, s[0:1]
	v_lshl_add_u64 v[16:17], v[16:17], 0, s[0:1]
	global_load_dwordx2 v[14:15], v[14:15], off
	ds_read_b32 v6, v7 offset:64
	global_load_dwordx2 v[16:17], v[16:17], off
	v_add_u32_e32 v4, s2, v4
	v_ashrrev_i32_e32 v5, 31, v4
	v_add_u32_e32 v30, s2, v4
	s_waitcnt lgkmcnt(0)
	v_pk_mul_f32 v[0:1], v[6:7], v[0:1] op_sel_hi:[0,1]
	v_pk_mul_f32 v[8:9], v[6:7], v[8:9] op_sel_hi:[0,1]
	v_lshl_add_u64 v[4:5], v[4:5], 3, s[8:9]
	v_ashrrev_i32_e32 v31, 31, v30
	v_add_u32_e32 v32, s2, v30
	v_pk_mul_f32 v[10:11], v[6:7], v[10:11] op_sel_hi:[0,1]
	v_lshl_add_u64 v[30:31], v[30:31], 3, s[8:9]
	v_ashrrev_i32_e32 v33, 31, v32
	v_pk_mul_f32 v[6:7], v[6:7], v[12:13] op_sel_hi:[0,1]
	s_waitcnt vmcnt(6)
	v_pk_fma_f32 v[0:1], v[0:1], v[18:19], v[20:21]
	global_store_dwordx2 v[2:3], v[0:1], off
	v_lshl_add_u64 v[2:3], v[32:33], 3, s[8:9]
	s_waitcnt vmcnt(5)
	v_pk_fma_f32 v[0:1], v[8:9], v[22:23], v[24:25]
	global_store_dwordx2 v[4:5], v[0:1], off
	s_waitcnt vmcnt(4)
	v_pk_fma_f32 v[0:1], v[10:11], v[26:27], v[28:29]
	global_store_dwordx2 v[30:31], v[0:1], off
	;; [unrolled: 3-line block ×3, first 2 shown]
	s_endpgm
	.section	.rodata,"a",@progbits
	.p2align	6, 0x0
	.amdhsa_kernel _Z30addBiasResidualPostLayerNormV2IfLi64EEvPT_PKS0_S3_S3_S3_fi
		.amdhsa_group_segment_fixed_size 72
		.amdhsa_private_segment_fixed_size 0
		.amdhsa_kernarg_size 304
		.amdhsa_user_sgpr_count 2
		.amdhsa_user_sgpr_dispatch_ptr 0
		.amdhsa_user_sgpr_queue_ptr 0
		.amdhsa_user_sgpr_kernarg_segment_ptr 1
		.amdhsa_user_sgpr_dispatch_id 0
		.amdhsa_user_sgpr_kernarg_preload_length 0
		.amdhsa_user_sgpr_kernarg_preload_offset 0
		.amdhsa_user_sgpr_private_segment_size 0
		.amdhsa_uses_dynamic_stack 0
		.amdhsa_enable_private_segment 0
		.amdhsa_system_sgpr_workgroup_id_x 1
		.amdhsa_system_sgpr_workgroup_id_y 0
		.amdhsa_system_sgpr_workgroup_id_z 0
		.amdhsa_system_sgpr_workgroup_info 0
		.amdhsa_system_vgpr_workitem_id 0
		.amdhsa_next_free_vgpr 35
		.amdhsa_next_free_sgpr 19
		.amdhsa_accum_offset 36
		.amdhsa_reserve_vcc 1
		.amdhsa_float_round_mode_32 0
		.amdhsa_float_round_mode_16_64 0
		.amdhsa_float_denorm_mode_32 3
		.amdhsa_float_denorm_mode_16_64 3
		.amdhsa_dx10_clamp 1
		.amdhsa_ieee_mode 1
		.amdhsa_fp16_overflow 0
		.amdhsa_tg_split 0
		.amdhsa_exception_fp_ieee_invalid_op 0
		.amdhsa_exception_fp_denorm_src 0
		.amdhsa_exception_fp_ieee_div_zero 0
		.amdhsa_exception_fp_ieee_overflow 0
		.amdhsa_exception_fp_ieee_underflow 0
		.amdhsa_exception_fp_ieee_inexact 0
		.amdhsa_exception_int_div_zero 0
	.end_amdhsa_kernel
	.section	.text._Z30addBiasResidualPostLayerNormV2IfLi64EEvPT_PKS0_S3_S3_S3_fi,"axG",@progbits,_Z30addBiasResidualPostLayerNormV2IfLi64EEvPT_PKS0_S3_S3_S3_fi,comdat
.Lfunc_end0:
	.size	_Z30addBiasResidualPostLayerNormV2IfLi64EEvPT_PKS0_S3_S3_S3_fi, .Lfunc_end0-_Z30addBiasResidualPostLayerNormV2IfLi64EEvPT_PKS0_S3_S3_S3_fi
                                        ; -- End function
	.set _Z30addBiasResidualPostLayerNormV2IfLi64EEvPT_PKS0_S3_S3_S3_fi.num_vgpr, 35
	.set _Z30addBiasResidualPostLayerNormV2IfLi64EEvPT_PKS0_S3_S3_S3_fi.num_agpr, 0
	.set _Z30addBiasResidualPostLayerNormV2IfLi64EEvPT_PKS0_S3_S3_S3_fi.numbered_sgpr, 19
	.set _Z30addBiasResidualPostLayerNormV2IfLi64EEvPT_PKS0_S3_S3_S3_fi.num_named_barrier, 0
	.set _Z30addBiasResidualPostLayerNormV2IfLi64EEvPT_PKS0_S3_S3_S3_fi.private_seg_size, 0
	.set _Z30addBiasResidualPostLayerNormV2IfLi64EEvPT_PKS0_S3_S3_S3_fi.uses_vcc, 1
	.set _Z30addBiasResidualPostLayerNormV2IfLi64EEvPT_PKS0_S3_S3_S3_fi.uses_flat_scratch, 0
	.set _Z30addBiasResidualPostLayerNormV2IfLi64EEvPT_PKS0_S3_S3_S3_fi.has_dyn_sized_stack, 0
	.set _Z30addBiasResidualPostLayerNormV2IfLi64EEvPT_PKS0_S3_S3_S3_fi.has_recursion, 0
	.set _Z30addBiasResidualPostLayerNormV2IfLi64EEvPT_PKS0_S3_S3_S3_fi.has_indirect_call, 0
	.section	.AMDGPU.csdata,"",@progbits
; Kernel info:
; codeLenInByte = 1844
; TotalNumSgprs: 25
; NumVgprs: 35
; NumAgprs: 0
; TotalNumVgprs: 35
; ScratchSize: 0
; MemoryBound: 0
; FloatMode: 240
; IeeeMode: 1
; LDSByteSize: 72 bytes/workgroup (compile time only)
; SGPRBlocks: 3
; VGPRBlocks: 4
; NumSGPRsForWavesPerEU: 25
; NumVGPRsForWavesPerEU: 35
; AccumOffset: 36
; Occupancy: 8
; WaveLimiterHint : 0
; COMPUTE_PGM_RSRC2:SCRATCH_EN: 0
; COMPUTE_PGM_RSRC2:USER_SGPR: 2
; COMPUTE_PGM_RSRC2:TRAP_HANDLER: 0
; COMPUTE_PGM_RSRC2:TGID_X_EN: 1
; COMPUTE_PGM_RSRC2:TGID_Y_EN: 0
; COMPUTE_PGM_RSRC2:TGID_Z_EN: 0
; COMPUTE_PGM_RSRC2:TIDIG_COMP_CNT: 0
; COMPUTE_PGM_RSRC3_GFX90A:ACCUM_OFFSET: 8
; COMPUTE_PGM_RSRC3_GFX90A:TG_SPLIT: 0
	.section	.text._Z30addBiasResidualPostLayerNormV2IfLi32EEvPT_PKS0_S3_S3_S3_fi,"axG",@progbits,_Z30addBiasResidualPostLayerNormV2IfLi32EEvPT_PKS0_S3_S3_S3_fi,comdat
	.protected	_Z30addBiasResidualPostLayerNormV2IfLi32EEvPT_PKS0_S3_S3_S3_fi ; -- Begin function _Z30addBiasResidualPostLayerNormV2IfLi32EEvPT_PKS0_S3_S3_S3_fi
	.globl	_Z30addBiasResidualPostLayerNormV2IfLi32EEvPT_PKS0_S3_S3_S3_fi
	.p2align	8
	.type	_Z30addBiasResidualPostLayerNormV2IfLi32EEvPT_PKS0_S3_S3_S3_fi,@function
_Z30addBiasResidualPostLayerNormV2IfLi32EEvPT_PKS0_S3_S3_S3_fi: ; @_Z30addBiasResidualPostLayerNormV2IfLi32EEvPT_PKS0_S3_S3_S3_fi
; %bb.0:
	s_load_dword s3, s[0:1], 0x3c
	s_load_dwordx2 s[14:15], s[0:1], 0x28
	s_load_dwordx4 s[4:7], s[0:1], 0x0
	s_load_dwordx2 s[10:11], s[0:1], 0x10
	s_mov_b32 s13, 0
	s_waitcnt lgkmcnt(0)
	s_and_b32 s8, s3, 0xffff
	s_mul_i32 s2, s15, s2
	s_lshr_b32 s3, s2, 31
	s_add_i32 s2, s2, s3
	s_ashr_i32 s2, s2, 1
	v_add_u32_e32 v6, s2, v0
	v_add_u32_e32 v14, s8, v6
	v_ashrrev_i32_e32 v7, 31, v6
	v_ashrrev_i32_e32 v15, 31, v14
	v_lshlrev_b64 v[4:5], 3, v[6:7]
	v_lshlrev_b64 v[16:17], 3, v[14:15]
	v_add_u32_e32 v14, s8, v14
	v_lshl_add_u64 v[2:3], s[4:5], 0, v[4:5]
	v_lshl_add_u64 v[8:9], s[6:7], 0, v[4:5]
	v_mov_b32_e32 v5, 0
	v_lshlrev_b32_e32 v4, 3, v0
	v_ashrrev_i32_e32 v15, 31, v14
	v_lshl_add_u64 v[10:11], s[10:11], 0, v[4:5]
	s_lshl_b32 s12, s8, 3
	v_lshlrev_b64 v[20:21], 3, v[14:15]
	global_load_dwordx2 v[12:13], v4, s[10:11]
	v_lshl_add_u64 v[6:7], s[4:5], 0, v[16:17]
	global_load_dwordx2 v[18:19], v[2:3], off
	global_load_dwordx2 v[22:23], v[6:7], off
	v_lshl_add_u64 v[16:17], s[6:7], 0, v[16:17]
	global_load_dwordx2 v[24:25], v[8:9], off
	global_load_dwordx2 v[26:27], v[16:17], off
	v_lshl_add_u64 v[10:11], v[10:11], 0, s[12:13]
	v_lshl_add_u64 v[8:9], s[4:5], 0, v[20:21]
	;; [unrolled: 1-line block ×3, first 2 shown]
	global_load_dwordx2 v[16:17], v[10:11], off
	global_load_dwordx2 v[28:29], v[20:21], off
	v_lshl_add_u64 v[20:21], v[10:11], 0, s[12:13]
	v_add_u32_e32 v10, s8, v14
	v_ashrrev_i32_e32 v11, 31, v10
	v_lshlrev_b64 v[14:15], 3, v[10:11]
	v_lshl_add_u64 v[10:11], s[4:5], 0, v[14:15]
	v_lshl_add_u64 v[14:15], s[6:7], 0, v[14:15]
	global_load_dwordx2 v[30:31], v[20:21], off
	global_load_dwordx2 v[32:33], v[8:9], off
	;; [unrolled: 1-line block ×4, first 2 shown]
	v_lshl_add_u64 v[14:15], v[20:21], 0, s[12:13]
	global_load_dwordx2 v[38:39], v[14:15], off
	v_mbcnt_lo_u32_b32 v1, -1, 0
	v_mbcnt_hi_u32_b32 v1, -1, v1
	v_and_b32_e32 v14, 0x60, v1
	v_xor_b32_e32 v15, 16, v1
	v_add_u32_e32 v40, 32, v14
	v_cmp_lt_i32_e32 vcc, v15, v40
	v_xor_b32_e32 v21, 8, v1
	s_nop 0
	v_cndmask_b32_e32 v14, v1, v15, vcc
	v_lshlrev_b32_e32 v20, 2, v14
	v_cmp_lt_i32_e32 vcc, v21, v40
	s_waitcnt vmcnt(8)
	v_pk_add_f32 v[14:15], v[18:19], v[24:25]
	s_nop 0
	v_pk_add_f32 v[12:13], v[14:15], v[12:13]
	s_waitcnt vmcnt(7)
	v_pk_add_f32 v[14:15], v[22:23], v[26:27]
	v_pk_add_f32 v[18:19], v[12:13], 0 op_sel_hi:[1,0]
	v_cndmask_b32_e32 v21, v1, v21, vcc
	s_waitcnt vmcnt(6)
	v_pk_add_f32 v[14:15], v[14:15], v[16:17]
	v_lshlrev_b32_e32 v21, 2, v21
	v_pk_add_f32 v[18:19], v[14:15], v[18:19]
	v_xor_b32_e32 v26, 1, v1
	s_waitcnt vmcnt(3)
	v_pk_add_f32 v[16:17], v[32:33], v[28:29]
	s_nop 0
	v_pk_add_f32 v[16:17], v[16:17], v[30:31]
	s_waitcnt vmcnt(1)
	v_pk_add_f32 v[22:23], v[34:35], v[36:37]
	v_pk_add_f32 v[24:25], v[16:17], v[18:19]
	s_waitcnt vmcnt(0)
	v_pk_add_f32 v[18:19], v[22:23], v[38:39]
	s_nop 0
	v_pk_add_f32 v[22:23], v[18:19], v[24:25]
	s_nop 0
	v_add_f32_e32 v22, v22, v23
	ds_bpermute_b32 v23, v20, v22
	s_waitcnt lgkmcnt(0)
	v_add_f32_e32 v23, v22, v23
	ds_bpermute_b32 v24, v21, v23
	v_xor_b32_e32 v22, 4, v1
	v_cmp_lt_i32_e32 vcc, v22, v40
	s_waitcnt lgkmcnt(0)
	v_add_f32_e32 v24, v23, v24
	v_cndmask_b32_e32 v22, v1, v22, vcc
	v_lshlrev_b32_e32 v22, 2, v22
	ds_bpermute_b32 v25, v22, v24
	v_xor_b32_e32 v23, 2, v1
	v_cmp_lt_i32_e32 vcc, v23, v40
	s_waitcnt lgkmcnt(0)
	v_add_f32_e32 v24, v24, v25
	v_cndmask_b32_e32 v23, v1, v23, vcc
	v_lshlrev_b32_e32 v23, 2, v23
	ds_bpermute_b32 v25, v23, v24
	v_cmp_lt_i32_e32 vcc, v26, v40
	s_nop 1
	v_cndmask_b32_e32 v1, v1, v26, vcc
	s_waitcnt lgkmcnt(0)
	v_add_f32_e32 v26, v24, v25
	v_lshlrev_b32_e32 v24, 2, v1
	ds_bpermute_b32 v27, v24, v26
	v_and_b32_e32 v1, 31, v0
	v_cmp_eq_u32_e64 s[2:3], 0, v1
	v_lshrrev_b32_e32 v25, 3, v0
	s_and_saveexec_b64 s[4:5], s[2:3]
	s_cbranch_execz .LBB1_2
; %bb.1:
	s_waitcnt lgkmcnt(0)
	v_add_f32_e32 v26, v26, v27
	ds_write_b32 v25, v26
.LBB1_2:
	s_or_b64 exec, exec, s[4:5]
	s_lshr_b32 s4, s8, 5
	v_cmp_gt_u32_e64 s[4:5], s4, v0
	v_lshlrev_b32_e32 v26, 2, v1
	s_waitcnt lgkmcnt(0)
	s_barrier
	s_and_saveexec_b64 s[6:7], s[4:5]
; %bb.3:
	ds_read_b32 v5, v26
; %bb.4:
	s_or_b64 exec, exec, s[6:7]
	s_waitcnt lgkmcnt(0)
	ds_bpermute_b32 v1, v20, v5
	v_cmp_eq_u32_e64 s[6:7], 0, v0
	s_waitcnt lgkmcnt(0)
	v_add_f32_e32 v1, v5, v1
	ds_bpermute_b32 v5, v21, v1
	s_waitcnt lgkmcnt(0)
	v_add_f32_e32 v1, v1, v5
	ds_bpermute_b32 v5, v22, v1
	;; [unrolled: 3-line block ×4, first 2 shown]
	v_cvt_f32_i32_e32 v5, s15
	s_and_saveexec_b64 s[8:9], s[6:7]
	s_cbranch_execz .LBB1_6
; %bb.5:
	s_waitcnt lgkmcnt(0)
	v_add_f32_e32 v0, v1, v27
	v_div_scale_f32 v1, s[10:11], v5, v5, v0
	v_rcp_f32_e32 v27, v1
	v_div_scale_f32 v28, vcc, v0, v5, v0
	v_fma_f32 v29, -v1, v27, 1.0
	v_fmac_f32_e32 v27, v29, v27
	v_mul_f32_e32 v29, v28, v27
	v_fma_f32 v30, -v1, v29, v28
	v_fmac_f32_e32 v29, v30, v27
	v_fma_f32 v1, -v1, v29, v28
	v_div_fmas_f32 v1, v1, v27, v29
	v_div_fixup_f32 v0, v1, v5, v0
	v_mov_b32_e32 v1, 0
	ds_write_b32 v1, v0 offset:132
.LBB1_6:
	s_or_b64 exec, exec, s[8:9]
	s_waitcnt lgkmcnt(0)
	v_mov_b32_e32 v27, 0
	s_barrier
	ds_read_b32 v28, v27 offset:132
	s_waitcnt lgkmcnt(0)
	v_pk_add_f32 v[0:1], v[12:13], v[28:29] op_sel_hi:[1,0] neg_lo:[0,1] neg_hi:[0,1]
	v_pk_add_f32 v[12:13], v[14:15], v[28:29] op_sel_hi:[1,0] neg_lo:[0,1] neg_hi:[0,1]
	v_pk_mul_f32 v[30:31], v[0:1], v[0:1]
	v_pk_mul_f32 v[32:33], v[12:13], v[12:13]
	v_pk_add_f32 v[14:15], v[16:17], v[28:29] op_sel_hi:[1,0] neg_lo:[0,1] neg_hi:[0,1]
	v_pk_add_f32 v[16:17], v[18:19], v[28:29] op_sel_hi:[1,0] neg_lo:[0,1] neg_hi:[0,1]
	v_pk_mul_f32 v[34:35], v[14:15], v[14:15]
	v_add_f32_e32 v28, v32, v33
	v_add_f32_e32 v29, v30, v31
	v_pk_mul_f32 v[18:19], v[16:17], v[16:17]
	v_add_f32_e32 v28, v29, v28
	v_add_f32_e32 v29, v34, v35
	v_add_f32_e32 v28, v28, v29
	v_add_f32_e32 v18, v18, v19
	v_add_f32_e32 v18, v28, v18
	ds_bpermute_b32 v19, v20, v18
	s_waitcnt lgkmcnt(0)
	v_add_f32_e32 v18, v18, v19
	ds_bpermute_b32 v19, v21, v18
	s_waitcnt lgkmcnt(0)
	v_add_f32_e32 v18, v18, v19
	ds_bpermute_b32 v19, v22, v18
	s_waitcnt lgkmcnt(0)
	v_add_f32_e32 v18, v18, v19
	ds_bpermute_b32 v19, v23, v18
	s_waitcnt lgkmcnt(0)
	v_add_f32_e32 v18, v18, v19
	ds_bpermute_b32 v19, v24, v18
	s_and_saveexec_b64 s[8:9], s[2:3]
	s_cbranch_execz .LBB1_8
; %bb.7:
	s_waitcnt lgkmcnt(0)
	v_add_f32_e32 v18, v18, v19
	ds_write_b32 v25, v18
.LBB1_8:
	s_or_b64 exec, exec, s[8:9]
	s_load_dwordx4 s[8:11], s[0:1], 0x18
	s_waitcnt lgkmcnt(0)
	s_barrier
	s_and_saveexec_b64 s[0:1], s[4:5]
; %bb.9:
	ds_read_b32 v27, v26
; %bb.10:
	s_or_b64 exec, exec, s[0:1]
	s_waitcnt lgkmcnt(0)
	ds_bpermute_b32 v18, v20, v27
	s_waitcnt lgkmcnt(0)
	v_add_f32_e32 v18, v27, v18
	ds_bpermute_b32 v19, v21, v18
	s_waitcnt lgkmcnt(0)
	v_add_f32_e32 v18, v18, v19
	;; [unrolled: 3-line block ×4, first 2 shown]
	ds_bpermute_b32 v19, v24, v18
	s_and_saveexec_b64 s[0:1], s[6:7]
	s_cbranch_execz .LBB1_12
; %bb.11:
	s_waitcnt lgkmcnt(0)
	v_add_f32_e32 v18, v18, v19
	v_div_scale_f32 v19, s[2:3], v5, v5, v18
	v_rcp_f32_e32 v20, v19
	v_div_scale_f32 v21, vcc, v18, v5, v18
	s_mov_b32 s2, 0x800000
	v_fma_f32 v22, -v19, v20, 1.0
	v_fmac_f32_e32 v20, v22, v20
	v_mul_f32_e32 v22, v21, v20
	v_fma_f32 v23, -v19, v22, v21
	v_fmac_f32_e32 v22, v23, v20
	v_fma_f32 v19, -v19, v22, v21
	v_div_fmas_f32 v19, v19, v20, v22
	v_div_fixup_f32 v5, v19, v5, v18
	v_add_f32_e32 v5, s14, v5
	v_mul_f32_e32 v18, 0x4b800000, v5
	v_cmp_gt_f32_e32 vcc, s2, v5
	s_nop 1
	v_cndmask_b32_e32 v5, v5, v18, vcc
	v_rsq_f32_e32 v5, v5
	s_nop 0
	v_mul_f32_e32 v18, 0x45800000, v5
	v_cndmask_b32_e32 v5, v5, v18, vcc
	v_mov_b32_e32 v18, 0
	ds_write_b32 v18, v5 offset:128
.LBB1_12:
	s_or_b64 exec, exec, s[0:1]
	v_mov_b32_e32 v5, 0
	s_waitcnt lgkmcnt(0)
	v_lshl_add_u64 v[18:19], s[8:9], 0, v[4:5]
	v_lshl_add_u64 v[20:21], s[10:11], 0, v[4:5]
	s_barrier
	global_load_dwordx2 v[22:23], v4, s[8:9]
	global_load_dwordx2 v[24:25], v4, s[10:11]
	v_lshl_add_u64 v[18:19], v[18:19], 0, s[12:13]
	v_lshl_add_u64 v[20:21], v[20:21], 0, s[12:13]
	global_load_dwordx2 v[26:27], v[18:19], off
	global_load_dwordx2 v[28:29], v[20:21], off
	v_lshl_add_u64 v[18:19], v[18:19], 0, s[12:13]
	v_lshl_add_u64 v[20:21], v[20:21], 0, s[12:13]
	global_load_dwordx2 v[30:31], v[18:19], off
	global_load_dwordx2 v[32:33], v[20:21], off
	v_lshl_add_u64 v[18:19], v[18:19], 0, s[12:13]
	v_lshl_add_u64 v[20:21], v[20:21], 0, s[12:13]
	global_load_dwordx2 v[18:19], v[18:19], off
	ds_read_b32 v4, v5 offset:128
	global_load_dwordx2 v[20:21], v[20:21], off
	s_waitcnt lgkmcnt(0)
	v_pk_mul_f32 v[0:1], v[4:5], v[0:1] op_sel_hi:[0,1]
	v_pk_mul_f32 v[12:13], v[4:5], v[12:13] op_sel_hi:[0,1]
	v_pk_mul_f32 v[14:15], v[4:5], v[14:15] op_sel_hi:[0,1]
	v_pk_mul_f32 v[4:5], v[4:5], v[16:17] op_sel_hi:[0,1]
	s_waitcnt vmcnt(6)
	v_pk_fma_f32 v[0:1], v[0:1], v[22:23], v[24:25]
	global_store_dwordx2 v[2:3], v[0:1], off
	s_waitcnt vmcnt(5)
	v_pk_fma_f32 v[0:1], v[12:13], v[26:27], v[28:29]
	global_store_dwordx2 v[6:7], v[0:1], off
	;; [unrolled: 3-line block ×4, first 2 shown]
	s_endpgm
	.section	.rodata,"a",@progbits
	.p2align	6, 0x0
	.amdhsa_kernel _Z30addBiasResidualPostLayerNormV2IfLi32EEvPT_PKS0_S3_S3_S3_fi
		.amdhsa_group_segment_fixed_size 136
		.amdhsa_private_segment_fixed_size 0
		.amdhsa_kernarg_size 304
		.amdhsa_user_sgpr_count 2
		.amdhsa_user_sgpr_dispatch_ptr 0
		.amdhsa_user_sgpr_queue_ptr 0
		.amdhsa_user_sgpr_kernarg_segment_ptr 1
		.amdhsa_user_sgpr_dispatch_id 0
		.amdhsa_user_sgpr_kernarg_preload_length 0
		.amdhsa_user_sgpr_kernarg_preload_offset 0
		.amdhsa_user_sgpr_private_segment_size 0
		.amdhsa_uses_dynamic_stack 0
		.amdhsa_enable_private_segment 0
		.amdhsa_system_sgpr_workgroup_id_x 1
		.amdhsa_system_sgpr_workgroup_id_y 0
		.amdhsa_system_sgpr_workgroup_id_z 0
		.amdhsa_system_sgpr_workgroup_info 0
		.amdhsa_system_vgpr_workitem_id 0
		.amdhsa_next_free_vgpr 41
		.amdhsa_next_free_sgpr 16
		.amdhsa_accum_offset 44
		.amdhsa_reserve_vcc 1
		.amdhsa_float_round_mode_32 0
		.amdhsa_float_round_mode_16_64 0
		.amdhsa_float_denorm_mode_32 3
		.amdhsa_float_denorm_mode_16_64 3
		.amdhsa_dx10_clamp 1
		.amdhsa_ieee_mode 1
		.amdhsa_fp16_overflow 0
		.amdhsa_tg_split 0
		.amdhsa_exception_fp_ieee_invalid_op 0
		.amdhsa_exception_fp_denorm_src 0
		.amdhsa_exception_fp_ieee_div_zero 0
		.amdhsa_exception_fp_ieee_overflow 0
		.amdhsa_exception_fp_ieee_underflow 0
		.amdhsa_exception_fp_ieee_inexact 0
		.amdhsa_exception_int_div_zero 0
	.end_amdhsa_kernel
	.section	.text._Z30addBiasResidualPostLayerNormV2IfLi32EEvPT_PKS0_S3_S3_S3_fi,"axG",@progbits,_Z30addBiasResidualPostLayerNormV2IfLi32EEvPT_PKS0_S3_S3_S3_fi,comdat
.Lfunc_end1:
	.size	_Z30addBiasResidualPostLayerNormV2IfLi32EEvPT_PKS0_S3_S3_S3_fi, .Lfunc_end1-_Z30addBiasResidualPostLayerNormV2IfLi32EEvPT_PKS0_S3_S3_S3_fi
                                        ; -- End function
	.set _Z30addBiasResidualPostLayerNormV2IfLi32EEvPT_PKS0_S3_S3_S3_fi.num_vgpr, 41
	.set _Z30addBiasResidualPostLayerNormV2IfLi32EEvPT_PKS0_S3_S3_S3_fi.num_agpr, 0
	.set _Z30addBiasResidualPostLayerNormV2IfLi32EEvPT_PKS0_S3_S3_S3_fi.numbered_sgpr, 16
	.set _Z30addBiasResidualPostLayerNormV2IfLi32EEvPT_PKS0_S3_S3_S3_fi.num_named_barrier, 0
	.set _Z30addBiasResidualPostLayerNormV2IfLi32EEvPT_PKS0_S3_S3_S3_fi.private_seg_size, 0
	.set _Z30addBiasResidualPostLayerNormV2IfLi32EEvPT_PKS0_S3_S3_S3_fi.uses_vcc, 1
	.set _Z30addBiasResidualPostLayerNormV2IfLi32EEvPT_PKS0_S3_S3_S3_fi.uses_flat_scratch, 0
	.set _Z30addBiasResidualPostLayerNormV2IfLi32EEvPT_PKS0_S3_S3_S3_fi.has_dyn_sized_stack, 0
	.set _Z30addBiasResidualPostLayerNormV2IfLi32EEvPT_PKS0_S3_S3_S3_fi.has_recursion, 0
	.set _Z30addBiasResidualPostLayerNormV2IfLi32EEvPT_PKS0_S3_S3_S3_fi.has_indirect_call, 0
	.section	.AMDGPU.csdata,"",@progbits
; Kernel info:
; codeLenInByte = 1684
; TotalNumSgprs: 22
; NumVgprs: 41
; NumAgprs: 0
; TotalNumVgprs: 41
; ScratchSize: 0
; MemoryBound: 0
; FloatMode: 240
; IeeeMode: 1
; LDSByteSize: 136 bytes/workgroup (compile time only)
; SGPRBlocks: 2
; VGPRBlocks: 5
; NumSGPRsForWavesPerEU: 22
; NumVGPRsForWavesPerEU: 41
; AccumOffset: 44
; Occupancy: 8
; WaveLimiterHint : 0
; COMPUTE_PGM_RSRC2:SCRATCH_EN: 0
; COMPUTE_PGM_RSRC2:USER_SGPR: 2
; COMPUTE_PGM_RSRC2:TRAP_HANDLER: 0
; COMPUTE_PGM_RSRC2:TGID_X_EN: 1
; COMPUTE_PGM_RSRC2:TGID_Y_EN: 0
; COMPUTE_PGM_RSRC2:TGID_Z_EN: 0
; COMPUTE_PGM_RSRC2:TIDIG_COMP_CNT: 0
; COMPUTE_PGM_RSRC3_GFX90A:ACCUM_OFFSET: 10
; COMPUTE_PGM_RSRC3_GFX90A:TG_SPLIT: 0
	.section	.text._Z28addBiasResidualPostLayerNormIfLi1ELi64EEvPT_PKS0_S3_S3_S3_fi,"axG",@progbits,_Z28addBiasResidualPostLayerNormIfLi1ELi64EEvPT_PKS0_S3_S3_S3_fi,comdat
	.protected	_Z28addBiasResidualPostLayerNormIfLi1ELi64EEvPT_PKS0_S3_S3_S3_fi ; -- Begin function _Z28addBiasResidualPostLayerNormIfLi1ELi64EEvPT_PKS0_S3_S3_S3_fi
	.globl	_Z28addBiasResidualPostLayerNormIfLi1ELi64EEvPT_PKS0_S3_S3_S3_fi
	.p2align	8
	.type	_Z28addBiasResidualPostLayerNormIfLi1ELi64EEvPT_PKS0_S3_S3_S3_fi,@function
_Z28addBiasResidualPostLayerNormIfLi1ELi64EEvPT_PKS0_S3_S3_S3_fi: ; @_Z28addBiasResidualPostLayerNormIfLi1ELi64EEvPT_PKS0_S3_S3_S3_fi
; %bb.0:
	s_load_dwordx2 s[14:15], s[0:1], 0x28
	s_load_dwordx2 s[12:13], s[0:1], 0x0
	v_mov_b32_e32 v5, 0
	v_lshlrev_b32_e32 v1, 2, v0
                                        ; implicit-def: $vgpr4
	s_waitcnt lgkmcnt(0)
	s_mul_i32 s2, s15, s2
	v_cmp_gt_i32_e64 s[10:11], s15, v0
	v_add_u32_e32 v2, s2, v0
	s_and_saveexec_b64 s[2:3], s[10:11]
	s_cbranch_execz .LBB2_2
; %bb.1:
	s_load_dwordx4 s[4:7], s[0:1], 0x8
	v_mov_b32_e32 v3, 0
	v_lshlrev_b64 v[4:5], 2, v[2:3]
	v_lshl_add_u64 v[6:7], s[12:13], 0, v[4:5]
	global_load_dword v3, v[6:7], off
	s_waitcnt lgkmcnt(0)
	v_lshl_add_u64 v[4:5], s[4:5], 0, v[4:5]
	global_load_dword v6, v[4:5], off
	global_load_dword v7, v1, s[6:7]
	s_waitcnt vmcnt(1)
	v_add_f32_e32 v3, v3, v6
	s_waitcnt vmcnt(0)
	v_add_f32_e32 v4, v3, v7
	v_add_f32_e32 v5, 0, v4
.LBB2_2:
	s_or_b64 exec, exec, s[2:3]
	v_mbcnt_lo_u32_b32 v3, -1, 0
	v_mbcnt_hi_u32_b32 v9, -1, v3
	v_and_b32_e32 v3, 64, v9
	v_add_u32_e32 v10, 64, v3
	v_xor_b32_e32 v3, 32, v9
	v_cmp_lt_i32_e32 vcc, v3, v10
	v_xor_b32_e32 v7, 16, v9
	v_xor_b32_e32 v8, 8, v9
	v_cndmask_b32_e32 v3, v9, v3, vcc
	v_lshlrev_b32_e32 v3, 2, v3
	ds_bpermute_b32 v6, v3, v5
	v_cmp_lt_i32_e32 vcc, v7, v10
	v_xor_b32_e32 v11, 4, v9
	v_xor_b32_e32 v12, 2, v9
	;; [unrolled: 1-line block ×3, first 2 shown]
	s_waitcnt lgkmcnt(0)
	v_add_f32_e32 v6, v5, v6
	v_cndmask_b32_e32 v5, v9, v7, vcc
	v_lshlrev_b32_e32 v5, 2, v5
	ds_bpermute_b32 v7, v5, v6
	v_cmp_lt_i32_e32 vcc, v8, v10
	s_waitcnt lgkmcnt(0)
	v_add_f32_e32 v7, v6, v7
	v_cndmask_b32_e32 v6, v9, v8, vcc
	v_lshlrev_b32_e32 v6, 2, v6
	ds_bpermute_b32 v8, v6, v7
	v_cmp_lt_i32_e32 vcc, v11, v10
	;; [unrolled: 6-line block ×4, first 2 shown]
	v_and_b32_e32 v10, 63, v0
	v_cmp_eq_u32_e64 s[4:5], 0, v10
	v_cndmask_b32_e32 v9, v9, v13, vcc
	s_waitcnt lgkmcnt(0)
	v_add_f32_e32 v12, v11, v12
	v_lshlrev_b32_e32 v9, 2, v9
	ds_bpermute_b32 v13, v9, v12
	v_lshrrev_b32_e32 v11, 4, v0
	s_and_saveexec_b64 s[2:3], s[4:5]
	s_cbranch_execz .LBB2_4
; %bb.3:
	s_waitcnt lgkmcnt(0)
	v_add_f32_e32 v12, v12, v13
	ds_write_b32 v11, v12
.LBB2_4:
	s_or_b64 exec, exec, s[2:3]
	s_waitcnt lgkmcnt(0)
	s_barrier
	s_load_dword s2, s[0:1], 0x3c
	v_mov_b32_e32 v13, 0
	v_lshlrev_b32_e32 v12, 2, v10
	s_waitcnt lgkmcnt(0)
	s_bfe_u32 s2, s2, 0xa0006
	v_cmp_gt_u32_e64 s[6:7], s2, v0
	s_and_saveexec_b64 s[2:3], s[6:7]
; %bb.5:
	ds_read_b32 v13, v12
; %bb.6:
	s_or_b64 exec, exec, s[2:3]
	s_waitcnt lgkmcnt(0)
	ds_bpermute_b32 v10, v3, v13
	v_cmp_eq_u32_e64 s[8:9], 0, v0
	s_waitcnt lgkmcnt(0)
	v_add_f32_e32 v10, v13, v10
	ds_bpermute_b32 v13, v5, v10
	s_waitcnt lgkmcnt(0)
	v_add_f32_e32 v10, v10, v13
	ds_bpermute_b32 v13, v6, v10
	;; [unrolled: 3-line block ×5, first 2 shown]
	v_cvt_f32_i32_e32 v10, s15
	s_and_saveexec_b64 s[2:3], s[8:9]
	s_cbranch_execz .LBB2_8
; %bb.7:
	s_waitcnt lgkmcnt(0)
	v_add_f32_e32 v0, v13, v14
	v_div_scale_f32 v13, s[16:17], v10, v10, v0
	v_rcp_f32_e32 v14, v13
	v_div_scale_f32 v15, vcc, v0, v10, v0
	v_fma_f32 v16, -v13, v14, 1.0
	v_fmac_f32_e32 v14, v16, v14
	v_mul_f32_e32 v16, v15, v14
	v_fma_f32 v17, -v13, v16, v15
	v_fmac_f32_e32 v16, v17, v14
	v_fma_f32 v13, -v13, v16, v15
	v_div_fmas_f32 v13, v13, v14, v16
	v_div_fixup_f32 v0, v13, v10, v0
	v_mov_b32_e32 v13, 0
	ds_write_b32 v13, v0 offset:68
.LBB2_8:
	s_or_b64 exec, exec, s[2:3]
	v_mov_b32_e32 v0, 0
	s_waitcnt lgkmcnt(0)
	s_barrier
	ds_read_b32 v13, v0 offset:68
	s_waitcnt lgkmcnt(0)
	v_sub_f32_e32 v13, v4, v13
	v_mul_f32_e32 v13, v13, v13
	v_cndmask_b32_e64 v13, 0, v13, s[10:11]
	ds_bpermute_b32 v14, v3, v13
	s_waitcnt lgkmcnt(0)
	v_add_f32_e32 v13, v13, v14
	ds_bpermute_b32 v14, v5, v13
	s_waitcnt lgkmcnt(0)
	v_add_f32_e32 v13, v13, v14
	;; [unrolled: 3-line block ×5, first 2 shown]
	ds_bpermute_b32 v14, v9, v13
	s_and_saveexec_b64 s[2:3], s[4:5]
	s_cbranch_execz .LBB2_10
; %bb.9:
	s_waitcnt lgkmcnt(0)
	v_add_f32_e32 v13, v13, v14
	ds_write_b32 v11, v13
.LBB2_10:
	s_or_b64 exec, exec, s[2:3]
	s_waitcnt lgkmcnt(0)
	s_barrier
	s_and_saveexec_b64 s[2:3], s[6:7]
; %bb.11:
	ds_read_b32 v0, v12
; %bb.12:
	s_or_b64 exec, exec, s[2:3]
	s_waitcnt lgkmcnt(0)
	ds_bpermute_b32 v3, v3, v0
	s_waitcnt lgkmcnt(0)
	v_add_f32_e32 v0, v0, v3
	ds_bpermute_b32 v3, v5, v0
	s_waitcnt lgkmcnt(0)
	v_add_f32_e32 v0, v0, v3
	;; [unrolled: 3-line block ×5, first 2 shown]
	ds_bpermute_b32 v3, v9, v0
	s_and_saveexec_b64 s[2:3], s[8:9]
	s_cbranch_execz .LBB2_14
; %bb.13:
	s_waitcnt lgkmcnt(0)
	v_add_f32_e32 v0, v0, v3
	v_div_scale_f32 v3, s[4:5], v10, v10, v0
	v_rcp_f32_e32 v5, v3
	v_div_scale_f32 v6, vcc, v0, v10, v0
	v_fma_f32 v7, -v3, v5, 1.0
	v_fmac_f32_e32 v5, v7, v5
	v_mul_f32_e32 v7, v6, v5
	v_fma_f32 v8, -v3, v7, v6
	v_fmac_f32_e32 v7, v8, v5
	v_fma_f32 v3, -v3, v7, v6
	v_div_fmas_f32 v3, v3, v5, v7
	v_div_fixup_f32 v0, v3, v10, v0
	v_add_f32_e32 v0, s14, v0
	v_mov_b32_e32 v3, 0
	ds_write_b32 v3, v0 offset:64
.LBB2_14:
	s_or_b64 exec, exec, s[2:3]
	s_waitcnt lgkmcnt(0)
	s_barrier
	s_and_saveexec_b64 s[2:3], s[10:11]
	s_cbranch_execz .LBB2_16
; %bb.15:
	s_load_dwordx4 s[4:7], s[0:1], 0x18
	v_mov_b32_e32 v3, 0
	s_mov_b32 s0, 0x800000
	s_waitcnt lgkmcnt(0)
	global_load_dword v5, v1, s[4:5]
	global_load_dword v6, v1, s[6:7]
	ds_read_b64 v[0:1], v3 offset:64
	s_waitcnt lgkmcnt(0)
	v_mul_f32_e32 v7, 0x4b800000, v0
	v_cmp_gt_f32_e32 vcc, s0, v0
	v_sub_f32_e32 v1, v4, v1
	s_nop 0
	v_cndmask_b32_e32 v0, v0, v7, vcc
	v_rsq_f32_e32 v0, v0
	s_nop 0
	v_mul_f32_e32 v4, 0x45800000, v0
	v_cndmask_b32_e32 v0, v0, v4, vcc
	v_mul_f32_e32 v0, v1, v0
	s_waitcnt vmcnt(0)
	v_fmac_f32_e32 v6, v5, v0
	v_lshl_add_u64 v[0:1], v[2:3], 2, s[12:13]
	global_store_dword v[0:1], v6, off
.LBB2_16:
	s_endpgm
	.section	.rodata,"a",@progbits
	.p2align	6, 0x0
	.amdhsa_kernel _Z28addBiasResidualPostLayerNormIfLi1ELi64EEvPT_PKS0_S3_S3_S3_fi
		.amdhsa_group_segment_fixed_size 72
		.amdhsa_private_segment_fixed_size 0
		.amdhsa_kernarg_size 304
		.amdhsa_user_sgpr_count 2
		.amdhsa_user_sgpr_dispatch_ptr 0
		.amdhsa_user_sgpr_queue_ptr 0
		.amdhsa_user_sgpr_kernarg_segment_ptr 1
		.amdhsa_user_sgpr_dispatch_id 0
		.amdhsa_user_sgpr_kernarg_preload_length 0
		.amdhsa_user_sgpr_kernarg_preload_offset 0
		.amdhsa_user_sgpr_private_segment_size 0
		.amdhsa_uses_dynamic_stack 0
		.amdhsa_enable_private_segment 0
		.amdhsa_system_sgpr_workgroup_id_x 1
		.amdhsa_system_sgpr_workgroup_id_y 0
		.amdhsa_system_sgpr_workgroup_id_z 0
		.amdhsa_system_sgpr_workgroup_info 0
		.amdhsa_system_vgpr_workitem_id 0
		.amdhsa_next_free_vgpr 18
		.amdhsa_next_free_sgpr 18
		.amdhsa_accum_offset 20
		.amdhsa_reserve_vcc 1
		.amdhsa_float_round_mode_32 0
		.amdhsa_float_round_mode_16_64 0
		.amdhsa_float_denorm_mode_32 3
		.amdhsa_float_denorm_mode_16_64 3
		.amdhsa_dx10_clamp 1
		.amdhsa_ieee_mode 1
		.amdhsa_fp16_overflow 0
		.amdhsa_tg_split 0
		.amdhsa_exception_fp_ieee_invalid_op 0
		.amdhsa_exception_fp_denorm_src 0
		.amdhsa_exception_fp_ieee_div_zero 0
		.amdhsa_exception_fp_ieee_overflow 0
		.amdhsa_exception_fp_ieee_underflow 0
		.amdhsa_exception_fp_ieee_inexact 0
		.amdhsa_exception_int_div_zero 0
	.end_amdhsa_kernel
	.section	.text._Z28addBiasResidualPostLayerNormIfLi1ELi64EEvPT_PKS0_S3_S3_S3_fi,"axG",@progbits,_Z28addBiasResidualPostLayerNormIfLi1ELi64EEvPT_PKS0_S3_S3_S3_fi,comdat
.Lfunc_end2:
	.size	_Z28addBiasResidualPostLayerNormIfLi1ELi64EEvPT_PKS0_S3_S3_S3_fi, .Lfunc_end2-_Z28addBiasResidualPostLayerNormIfLi1ELi64EEvPT_PKS0_S3_S3_S3_fi
                                        ; -- End function
	.set _Z28addBiasResidualPostLayerNormIfLi1ELi64EEvPT_PKS0_S3_S3_S3_fi.num_vgpr, 18
	.set _Z28addBiasResidualPostLayerNormIfLi1ELi64EEvPT_PKS0_S3_S3_S3_fi.num_agpr, 0
	.set _Z28addBiasResidualPostLayerNormIfLi1ELi64EEvPT_PKS0_S3_S3_S3_fi.numbered_sgpr, 18
	.set _Z28addBiasResidualPostLayerNormIfLi1ELi64EEvPT_PKS0_S3_S3_S3_fi.num_named_barrier, 0
	.set _Z28addBiasResidualPostLayerNormIfLi1ELi64EEvPT_PKS0_S3_S3_S3_fi.private_seg_size, 0
	.set _Z28addBiasResidualPostLayerNormIfLi1ELi64EEvPT_PKS0_S3_S3_S3_fi.uses_vcc, 1
	.set _Z28addBiasResidualPostLayerNormIfLi1ELi64EEvPT_PKS0_S3_S3_S3_fi.uses_flat_scratch, 0
	.set _Z28addBiasResidualPostLayerNormIfLi1ELi64EEvPT_PKS0_S3_S3_S3_fi.has_dyn_sized_stack, 0
	.set _Z28addBiasResidualPostLayerNormIfLi1ELi64EEvPT_PKS0_S3_S3_S3_fi.has_recursion, 0
	.set _Z28addBiasResidualPostLayerNormIfLi1ELi64EEvPT_PKS0_S3_S3_S3_fi.has_indirect_call, 0
	.section	.AMDGPU.csdata,"",@progbits
; Kernel info:
; codeLenInByte = 1184
; TotalNumSgprs: 24
; NumVgprs: 18
; NumAgprs: 0
; TotalNumVgprs: 18
; ScratchSize: 0
; MemoryBound: 0
; FloatMode: 240
; IeeeMode: 1
; LDSByteSize: 72 bytes/workgroup (compile time only)
; SGPRBlocks: 2
; VGPRBlocks: 2
; NumSGPRsForWavesPerEU: 24
; NumVGPRsForWavesPerEU: 18
; AccumOffset: 20
; Occupancy: 8
; WaveLimiterHint : 0
; COMPUTE_PGM_RSRC2:SCRATCH_EN: 0
; COMPUTE_PGM_RSRC2:USER_SGPR: 2
; COMPUTE_PGM_RSRC2:TRAP_HANDLER: 0
; COMPUTE_PGM_RSRC2:TGID_X_EN: 1
; COMPUTE_PGM_RSRC2:TGID_Y_EN: 0
; COMPUTE_PGM_RSRC2:TGID_Z_EN: 0
; COMPUTE_PGM_RSRC2:TIDIG_COMP_CNT: 0
; COMPUTE_PGM_RSRC3_GFX90A:ACCUM_OFFSET: 4
; COMPUTE_PGM_RSRC3_GFX90A:TG_SPLIT: 0
	.section	.text._Z28addBiasResidualPostLayerNormIfLi2ELi64EEvPT_PKS0_S3_S3_S3_fi,"axG",@progbits,_Z28addBiasResidualPostLayerNormIfLi2ELi64EEvPT_PKS0_S3_S3_S3_fi,comdat
	.protected	_Z28addBiasResidualPostLayerNormIfLi2ELi64EEvPT_PKS0_S3_S3_S3_fi ; -- Begin function _Z28addBiasResidualPostLayerNormIfLi2ELi64EEvPT_PKS0_S3_S3_S3_fi
	.globl	_Z28addBiasResidualPostLayerNormIfLi2ELi64EEvPT_PKS0_S3_S3_S3_fi
	.p2align	8
	.type	_Z28addBiasResidualPostLayerNormIfLi2ELi64EEvPT_PKS0_S3_S3_S3_fi,@function
_Z28addBiasResidualPostLayerNormIfLi2ELi64EEvPT_PKS0_S3_S3_S3_fi: ; @_Z28addBiasResidualPostLayerNormIfLi2ELi64EEvPT_PKS0_S3_S3_S3_fi
; %bb.0:
	s_load_dwordx2 s[14:15], s[0:1], 0x28
	s_load_dwordx2 s[12:13], s[0:1], 0x0
	v_mov_b32_e32 v7, 0
	v_lshlrev_b32_e32 v4, 2, v0
	v_mov_b32_e32 v6, 0
	s_waitcnt lgkmcnt(0)
	s_mul_i32 s16, s15, s2
	v_cmp_gt_i32_e64 s[10:11], s15, v0
	v_add_u32_e32 v2, s16, v0
	v_mov_b32_e32 v3, v7
	s_and_saveexec_b64 s[2:3], s[10:11]
	s_cbranch_execz .LBB3_4
; %bb.1:
	s_load_dwordx4 s[4:7], s[0:1], 0x8
	s_load_dword s8, s[0:1], 0x3c
	v_mov_b32_e32 v3, 0
	v_lshlrev_b64 v[6:7], 2, v[2:3]
	v_lshl_add_u64 v[8:9], s[12:13], 0, v[6:7]
	global_load_dword v5, v[8:9], off
	s_waitcnt lgkmcnt(0)
	v_lshl_add_u64 v[6:7], s[4:5], 0, v[6:7]
	global_load_dword v8, v[6:7], off
	global_load_dword v9, v4, s[6:7]
	s_and_b32 s17, s8, 0xffff
	v_add_u32_e32 v1, s17, v0
	v_cmp_gt_u32_e32 vcc, s15, v1
	s_waitcnt vmcnt(1)
	v_add_f32_e32 v5, v5, v8
	s_waitcnt vmcnt(0)
	v_add_f32_e32 v6, v5, v9
	v_add_f32_e32 v7, 0, v6
	s_and_saveexec_b64 s[8:9], vcc
	s_cbranch_execz .LBB3_3
; %bb.2:
	v_add_u32_e32 v10, s16, v1
	v_mov_b32_e32 v11, v3
	v_mov_b32_e32 v5, v3
	v_lshlrev_b64 v[10:11], 2, v[10:11]
	v_lshl_add_u64 v[8:9], s[6:7], 0, v[4:5]
	s_mov_b32 s7, 0
	v_lshl_add_u64 v[12:13], s[12:13], 0, v[10:11]
	v_lshl_add_u64 v[10:11], s[4:5], 0, v[10:11]
	s_lshl_b32 s6, s17, 2
	global_load_dword v1, v[12:13], off
	global_load_dword v3, v[10:11], off
	v_lshl_add_u64 v[8:9], v[8:9], 0, s[6:7]
	global_load_dword v5, v[8:9], off
	s_waitcnt vmcnt(1)
	v_add_f32_e32 v1, v1, v3
	s_waitcnt vmcnt(0)
	v_add_f32_e32 v3, v1, v5
	v_add_f32_e32 v7, v7, v3
.LBB3_3:
	s_or_b64 exec, exec, s[8:9]
.LBB3_4:
	s_or_b64 exec, exec, s[2:3]
	v_mbcnt_lo_u32_b32 v1, -1, 0
	v_mbcnt_hi_u32_b32 v12, -1, v1
	v_and_b32_e32 v1, 64, v12
	v_add_u32_e32 v13, 64, v1
	v_xor_b32_e32 v1, 32, v12
	v_cmp_lt_i32_e32 vcc, v1, v13
	v_xor_b32_e32 v8, 16, v12
	v_xor_b32_e32 v9, 8, v12
	v_cndmask_b32_e32 v1, v12, v1, vcc
	v_lshlrev_b32_e32 v1, 2, v1
	ds_bpermute_b32 v5, v1, v7
	v_cmp_lt_i32_e32 vcc, v8, v13
	v_xor_b32_e32 v10, 4, v12
	v_xor_b32_e32 v11, 2, v12
	;; [unrolled: 1-line block ×3, first 2 shown]
	s_waitcnt lgkmcnt(0)
	v_add_f32_e32 v7, v7, v5
	v_cndmask_b32_e32 v5, v12, v8, vcc
	v_lshlrev_b32_e32 v5, 2, v5
	ds_bpermute_b32 v8, v5, v7
	v_cmp_lt_i32_e32 vcc, v9, v13
	s_waitcnt lgkmcnt(0)
	v_add_f32_e32 v7, v7, v8
	v_cndmask_b32_e32 v8, v12, v9, vcc
	v_lshlrev_b32_e32 v8, 2, v8
	ds_bpermute_b32 v9, v8, v7
	v_cmp_lt_i32_e32 vcc, v10, v13
	;; [unrolled: 6-line block ×4, first 2 shown]
	s_waitcnt lgkmcnt(0)
	v_add_f32_e32 v10, v7, v10
	v_cndmask_b32_e32 v7, v12, v14, vcc
	v_lshlrev_b32_e32 v12, 2, v7
	ds_bpermute_b32 v13, v12, v10
	v_and_b32_e32 v7, 63, v0
	v_cmp_eq_u32_e64 s[4:5], 0, v7
	v_lshrrev_b32_e32 v14, 4, v0
	s_and_saveexec_b64 s[2:3], s[4:5]
	s_cbranch_execz .LBB3_6
; %bb.5:
	s_waitcnt lgkmcnt(0)
	v_add_f32_e32 v10, v10, v13
	ds_write_b32 v14, v10
.LBB3_6:
	s_or_b64 exec, exec, s[2:3]
	s_waitcnt lgkmcnt(0)
	s_barrier
	s_load_dword s17, s[0:1], 0x3c
	v_mov_b32_e32 v10, 0
	v_lshlrev_b32_e32 v15, 2, v7
	s_waitcnt lgkmcnt(0)
	s_bfe_u32 s2, s17, 0xa0006
	v_cmp_gt_u32_e64 s[6:7], s2, v0
	s_and_saveexec_b64 s[2:3], s[6:7]
; %bb.7:
	ds_read_b32 v10, v15
; %bb.8:
	s_or_b64 exec, exec, s[2:3]
	s_waitcnt lgkmcnt(0)
	ds_bpermute_b32 v7, v1, v10
	v_cvt_f32_i32_e32 v13, s15
	v_cmp_eq_u32_e64 s[8:9], 0, v0
	s_waitcnt lgkmcnt(0)
	v_add_f32_e32 v7, v10, v7
	ds_bpermute_b32 v10, v5, v7
	s_waitcnt lgkmcnt(0)
	v_add_f32_e32 v7, v7, v10
	ds_bpermute_b32 v10, v8, v7
	;; [unrolled: 3-line block ×5, first 2 shown]
	s_and_saveexec_b64 s[2:3], s[8:9]
	s_cbranch_execz .LBB3_10
; %bb.9:
	s_waitcnt lgkmcnt(0)
	v_add_f32_e32 v7, v7, v10
	v_div_scale_f32 v10, s[18:19], v13, v13, v7
	v_rcp_f32_e32 v16, v10
	v_div_scale_f32 v17, vcc, v7, v13, v7
	v_fma_f32 v18, -v10, v16, 1.0
	v_fmac_f32_e32 v16, v18, v16
	v_mul_f32_e32 v18, v17, v16
	v_fma_f32 v19, -v10, v18, v17
	v_fmac_f32_e32 v18, v19, v16
	v_fma_f32 v10, -v10, v18, v17
	v_div_fmas_f32 v10, v10, v16, v18
	v_div_fixup_f32 v7, v10, v13, v7
	v_mov_b32_e32 v10, 0
	ds_write_b32 v10, v7 offset:68
.LBB3_10:
	s_or_b64 exec, exec, s[2:3]
	s_and_b32 s17, 0xffff, s17
	v_mov_b32_e32 v7, 0
	s_waitcnt lgkmcnt(0)
	v_add_u32_e32 v10, s17, v0
	s_barrier
	s_and_saveexec_b64 s[2:3], s[10:11]
	s_cbranch_execz .LBB3_12
; %bb.11:
	v_mov_b32_e32 v0, 0
	ds_read_b32 v0, v0 offset:68
	v_mov_b32_e32 v7, v3
	v_cmp_gt_u32_e32 vcc, s15, v10
	s_waitcnt lgkmcnt(0)
	v_pk_add_f32 v[16:17], v[6:7], v[0:1] op_sel_hi:[1,0] neg_lo:[0,1] neg_hi:[0,1]
	s_nop 0
	v_pk_mul_f32 v[16:17], v[16:17], v[16:17]
	s_nop 0
	v_add_f32_e32 v0, v16, v17
	v_cndmask_b32_e32 v7, v16, v0, vcc
.LBB3_12:
	s_or_b64 exec, exec, s[2:3]
	ds_bpermute_b32 v0, v1, v7
	s_waitcnt lgkmcnt(0)
	v_add_f32_e32 v0, v7, v0
	ds_bpermute_b32 v7, v5, v0
	s_waitcnt lgkmcnt(0)
	v_add_f32_e32 v0, v0, v7
	;; [unrolled: 3-line block ×5, first 2 shown]
	ds_bpermute_b32 v7, v12, v0
	s_and_saveexec_b64 s[2:3], s[4:5]
	s_cbranch_execz .LBB3_14
; %bb.13:
	s_waitcnt lgkmcnt(0)
	v_add_f32_e32 v0, v0, v7
	ds_write_b32 v14, v0
.LBB3_14:
	s_or_b64 exec, exec, s[2:3]
	v_mov_b32_e32 v0, 0
	s_waitcnt lgkmcnt(0)
	s_barrier
	s_and_saveexec_b64 s[2:3], s[6:7]
; %bb.15:
	ds_read_b32 v0, v15
; %bb.16:
	s_or_b64 exec, exec, s[2:3]
	s_waitcnt lgkmcnt(0)
	ds_bpermute_b32 v1, v1, v0
	s_waitcnt lgkmcnt(0)
	v_add_f32_e32 v0, v0, v1
	ds_bpermute_b32 v1, v5, v0
	s_waitcnt lgkmcnt(0)
	v_add_f32_e32 v0, v0, v1
	;; [unrolled: 3-line block ×5, first 2 shown]
	ds_bpermute_b32 v1, v12, v0
	s_and_saveexec_b64 s[2:3], s[8:9]
	s_cbranch_execz .LBB3_18
; %bb.17:
	s_waitcnt lgkmcnt(0)
	v_add_f32_e32 v0, v0, v1
	v_div_scale_f32 v1, s[4:5], v13, v13, v0
	v_rcp_f32_e32 v5, v1
	v_div_scale_f32 v7, vcc, v0, v13, v0
	v_fma_f32 v8, -v1, v5, 1.0
	v_fmac_f32_e32 v5, v8, v5
	v_mul_f32_e32 v8, v7, v5
	v_fma_f32 v9, -v1, v8, v7
	v_fmac_f32_e32 v8, v9, v5
	v_fma_f32 v1, -v1, v8, v7
	v_div_fmas_f32 v1, v1, v5, v8
	v_div_fixup_f32 v0, v1, v13, v0
	v_add_f32_e32 v0, s14, v0
	v_mov_b32_e32 v1, 0
	ds_write_b32 v1, v0 offset:64
.LBB3_18:
	s_or_b64 exec, exec, s[2:3]
	s_waitcnt lgkmcnt(0)
	s_barrier
	s_and_saveexec_b64 s[2:3], s[10:11]
	s_cbranch_execz .LBB3_21
; %bb.19:
	s_load_dwordx4 s[4:7], s[0:1], 0x18
	v_mov_b32_e32 v1, 0
	s_mov_b32 s0, 0x800000
	s_waitcnt lgkmcnt(0)
	global_load_dword v5, v4, s[4:5]
	global_load_dword v7, v4, s[6:7]
	ds_read_b64 v[8:9], v1 offset:64
	s_waitcnt lgkmcnt(0)
	v_mul_f32_e32 v0, 0x4b800000, v8
	v_cmp_gt_f32_e32 vcc, s0, v8
	s_nop 1
	v_cndmask_b32_e32 v0, v8, v0, vcc
	v_rsq_f32_e32 v8, v0
	v_mov_b32_e32 v0, v2
	v_lshl_add_u64 v[12:13], v[0:1], 2, s[12:13]
	v_sub_f32_e32 v0, v6, v9
	v_mul_f32_e32 v2, 0x45800000, v8
	v_cndmask_b32_e32 v2, v8, v2, vcc
	v_mul_f32_e32 v0, v0, v2
	v_cmp_gt_u32_e32 vcc, s15, v10
	s_waitcnt vmcnt(0)
	v_fmac_f32_e32 v7, v5, v0
	global_store_dword v[12:13], v7, off
	s_and_b64 exec, exec, vcc
	s_cbranch_execz .LBB3_21
; %bb.20:
	v_mov_b32_e32 v5, v1
	v_lshl_add_u64 v[6:7], s[4:5], 0, v[4:5]
	v_lshl_add_u64 v[4:5], s[6:7], 0, v[4:5]
	s_lshl_b32 s0, s17, 2
	s_mov_b32 s1, 0
	v_lshl_add_u64 v[6:7], v[6:7], 0, s[0:1]
	v_lshl_add_u64 v[4:5], v[4:5], 0, s[0:1]
	global_load_dword v6, v[6:7], off
	v_sub_f32_e32 v3, v3, v9
	global_load_dword v4, v[4:5], off
	v_add_u32_e32 v0, s16, v10
	v_mul_f32_e32 v2, v3, v2
	v_lshl_add_u64 v[0:1], v[0:1], 2, s[12:13]
	s_waitcnt vmcnt(0)
	v_fmac_f32_e32 v4, v6, v2
	global_store_dword v[0:1], v4, off
.LBB3_21:
	s_endpgm
	.section	.rodata,"a",@progbits
	.p2align	6, 0x0
	.amdhsa_kernel _Z28addBiasResidualPostLayerNormIfLi2ELi64EEvPT_PKS0_S3_S3_S3_fi
		.amdhsa_group_segment_fixed_size 72
		.amdhsa_private_segment_fixed_size 0
		.amdhsa_kernarg_size 304
		.amdhsa_user_sgpr_count 2
		.amdhsa_user_sgpr_dispatch_ptr 0
		.amdhsa_user_sgpr_queue_ptr 0
		.amdhsa_user_sgpr_kernarg_segment_ptr 1
		.amdhsa_user_sgpr_dispatch_id 0
		.amdhsa_user_sgpr_kernarg_preload_length 0
		.amdhsa_user_sgpr_kernarg_preload_offset 0
		.amdhsa_user_sgpr_private_segment_size 0
		.amdhsa_uses_dynamic_stack 0
		.amdhsa_enable_private_segment 0
		.amdhsa_system_sgpr_workgroup_id_x 1
		.amdhsa_system_sgpr_workgroup_id_y 0
		.amdhsa_system_sgpr_workgroup_id_z 0
		.amdhsa_system_sgpr_workgroup_info 0
		.amdhsa_system_vgpr_workitem_id 0
		.amdhsa_next_free_vgpr 20
		.amdhsa_next_free_sgpr 20
		.amdhsa_accum_offset 20
		.amdhsa_reserve_vcc 1
		.amdhsa_float_round_mode_32 0
		.amdhsa_float_round_mode_16_64 0
		.amdhsa_float_denorm_mode_32 3
		.amdhsa_float_denorm_mode_16_64 3
		.amdhsa_dx10_clamp 1
		.amdhsa_ieee_mode 1
		.amdhsa_fp16_overflow 0
		.amdhsa_tg_split 0
		.amdhsa_exception_fp_ieee_invalid_op 0
		.amdhsa_exception_fp_denorm_src 0
		.amdhsa_exception_fp_ieee_div_zero 0
		.amdhsa_exception_fp_ieee_overflow 0
		.amdhsa_exception_fp_ieee_underflow 0
		.amdhsa_exception_fp_ieee_inexact 0
		.amdhsa_exception_int_div_zero 0
	.end_amdhsa_kernel
	.section	.text._Z28addBiasResidualPostLayerNormIfLi2ELi64EEvPT_PKS0_S3_S3_S3_fi,"axG",@progbits,_Z28addBiasResidualPostLayerNormIfLi2ELi64EEvPT_PKS0_S3_S3_S3_fi,comdat
.Lfunc_end3:
	.size	_Z28addBiasResidualPostLayerNormIfLi2ELi64EEvPT_PKS0_S3_S3_S3_fi, .Lfunc_end3-_Z28addBiasResidualPostLayerNormIfLi2ELi64EEvPT_PKS0_S3_S3_S3_fi
                                        ; -- End function
	.set _Z28addBiasResidualPostLayerNormIfLi2ELi64EEvPT_PKS0_S3_S3_S3_fi.num_vgpr, 20
	.set _Z28addBiasResidualPostLayerNormIfLi2ELi64EEvPT_PKS0_S3_S3_S3_fi.num_agpr, 0
	.set _Z28addBiasResidualPostLayerNormIfLi2ELi64EEvPT_PKS0_S3_S3_S3_fi.numbered_sgpr, 20
	.set _Z28addBiasResidualPostLayerNormIfLi2ELi64EEvPT_PKS0_S3_S3_S3_fi.num_named_barrier, 0
	.set _Z28addBiasResidualPostLayerNormIfLi2ELi64EEvPT_PKS0_S3_S3_S3_fi.private_seg_size, 0
	.set _Z28addBiasResidualPostLayerNormIfLi2ELi64EEvPT_PKS0_S3_S3_S3_fi.uses_vcc, 1
	.set _Z28addBiasResidualPostLayerNormIfLi2ELi64EEvPT_PKS0_S3_S3_S3_fi.uses_flat_scratch, 0
	.set _Z28addBiasResidualPostLayerNormIfLi2ELi64EEvPT_PKS0_S3_S3_S3_fi.has_dyn_sized_stack, 0
	.set _Z28addBiasResidualPostLayerNormIfLi2ELi64EEvPT_PKS0_S3_S3_S3_fi.has_recursion, 0
	.set _Z28addBiasResidualPostLayerNormIfLi2ELi64EEvPT_PKS0_S3_S3_S3_fi.has_indirect_call, 0
	.section	.AMDGPU.csdata,"",@progbits
; Kernel info:
; codeLenInByte = 1496
; TotalNumSgprs: 26
; NumVgprs: 20
; NumAgprs: 0
; TotalNumVgprs: 20
; ScratchSize: 0
; MemoryBound: 0
; FloatMode: 240
; IeeeMode: 1
; LDSByteSize: 72 bytes/workgroup (compile time only)
; SGPRBlocks: 3
; VGPRBlocks: 2
; NumSGPRsForWavesPerEU: 26
; NumVGPRsForWavesPerEU: 20
; AccumOffset: 20
; Occupancy: 8
; WaveLimiterHint : 0
; COMPUTE_PGM_RSRC2:SCRATCH_EN: 0
; COMPUTE_PGM_RSRC2:USER_SGPR: 2
; COMPUTE_PGM_RSRC2:TRAP_HANDLER: 0
; COMPUTE_PGM_RSRC2:TGID_X_EN: 1
; COMPUTE_PGM_RSRC2:TGID_Y_EN: 0
; COMPUTE_PGM_RSRC2:TGID_Z_EN: 0
; COMPUTE_PGM_RSRC2:TIDIG_COMP_CNT: 0
; COMPUTE_PGM_RSRC3_GFX90A:ACCUM_OFFSET: 4
; COMPUTE_PGM_RSRC3_GFX90A:TG_SPLIT: 0
	.section	.text._Z35generalAddBiasResidualPostLayerNormIfLi64EEvPT_PKS0_S3_S3_S3_fi,"axG",@progbits,_Z35generalAddBiasResidualPostLayerNormIfLi64EEvPT_PKS0_S3_S3_S3_fi,comdat
	.protected	_Z35generalAddBiasResidualPostLayerNormIfLi64EEvPT_PKS0_S3_S3_S3_fi ; -- Begin function _Z35generalAddBiasResidualPostLayerNormIfLi64EEvPT_PKS0_S3_S3_S3_fi
	.globl	_Z35generalAddBiasResidualPostLayerNormIfLi64EEvPT_PKS0_S3_S3_S3_fi
	.p2align	8
	.type	_Z35generalAddBiasResidualPostLayerNormIfLi64EEvPT_PKS0_S3_S3_S3_fi,@function
_Z35generalAddBiasResidualPostLayerNormIfLi64EEvPT_PKS0_S3_S3_S3_fi: ; @_Z35generalAddBiasResidualPostLayerNormIfLi64EEvPT_PKS0_S3_S3_S3_fi
; %bb.0:
	s_load_dwordx2 s[16:17], s[0:1], 0x28
	s_load_dwordx2 s[10:11], s[0:1], 0x0
	v_mov_b32_e32 v3, 0
	s_waitcnt lgkmcnt(0)
	s_lshr_b32 s3, s17, 31
	s_add_i32 s3, s17, s3
	s_ashr_i32 s20, s3, 1
	v_cmp_gt_i32_e64 s[8:9], s20, v0
	s_mul_i32 s21, s17, s2
	s_and_saveexec_b64 s[2:3], s[8:9]
	s_cbranch_execz .LBB4_4
; %bb.1:
	s_load_dword s12, s[0:1], 0x3c
	s_load_dwordx4 s[4:7], s[0:1], 0x8
	v_lshlrev_b32_e32 v2, 3, v0
	v_mov_b32_e32 v3, 0
	s_lshr_b32 s14, s21, 1
	s_waitcnt lgkmcnt(0)
	s_and_b32 s15, s12, 0xffff
	s_mov_b32 s13, 0
	v_lshl_add_u64 v[4:5], s[6:7], 0, v[2:3]
	s_lshl_b32 s12, s15, 3
	s_mov_b64 s[6:7], 0
	v_mov_b32_e32 v1, v0
.LBB4_2:                                ; =>This Inner Loop Header: Depth=1
	v_add_u32_e32 v6, s14, v1
	v_ashrrev_i32_e32 v7, 31, v6
	v_lshlrev_b64 v[6:7], 3, v[6:7]
	v_lshl_add_u64 v[8:9], s[10:11], 0, v[6:7]
	v_lshl_add_u64 v[6:7], s[4:5], 0, v[6:7]
	global_load_dwordx2 v[10:11], v[8:9], off
	global_load_dwordx2 v[12:13], v[6:7], off
	;; [unrolled: 1-line block ×3, first 2 shown]
	v_add_u32_e32 v1, s15, v1
	v_cmp_le_i32_e32 vcc, s20, v1
	v_lshl_add_u64 v[4:5], v[4:5], 0, s[12:13]
	s_or_b64 s[6:7], vcc, s[6:7]
	s_waitcnt vmcnt(1)
	v_pk_add_f32 v[6:7], v[10:11], v[12:13]
	s_waitcnt vmcnt(0)
	v_pk_add_f32 v[6:7], v[6:7], v[14:15]
	global_store_dwordx2 v[8:9], v[6:7], off
	v_add_f32_e32 v2, v3, v6
	v_add_f32_e32 v3, v2, v7
	s_andn2_b64 exec, exec, s[6:7]
	s_cbranch_execnz .LBB4_2
; %bb.3:
	s_or_b64 exec, exec, s[6:7]
.LBB4_4:
	s_or_b64 exec, exec, s[2:3]
	v_mbcnt_lo_u32_b32 v1, -1, 0
	v_mbcnt_hi_u32_b32 v2, -1, v1
	v_and_b32_e32 v1, 64, v2
	v_add_u32_e32 v8, 64, v1
	v_xor_b32_e32 v1, 32, v2
	v_cmp_lt_i32_e32 vcc, v1, v8
	v_xor_b32_e32 v5, 16, v2
	v_xor_b32_e32 v6, 8, v2
	v_cndmask_b32_e32 v1, v2, v1, vcc
	v_lshlrev_b32_e32 v1, 2, v1
	ds_bpermute_b32 v4, v1, v3
	v_cmp_lt_i32_e32 vcc, v5, v8
	v_xor_b32_e32 v7, 4, v2
	v_xor_b32_e32 v9, 2, v2
	;; [unrolled: 1-line block ×3, first 2 shown]
	s_waitcnt lgkmcnt(0)
	v_add_f32_e32 v3, v3, v4
	v_cndmask_b32_e32 v4, v2, v5, vcc
	v_lshlrev_b32_e32 v4, 2, v4
	ds_bpermute_b32 v5, v4, v3
	v_cmp_lt_i32_e32 vcc, v6, v8
	s_load_dwordx4 s[12:15], s[0:1], 0x18
	s_waitcnt lgkmcnt(0)
	v_add_f32_e32 v3, v3, v5
	v_cndmask_b32_e32 v5, v2, v6, vcc
	v_lshlrev_b32_e32 v5, 2, v5
	ds_bpermute_b32 v6, v5, v3
	v_cmp_lt_i32_e32 vcc, v7, v8
	s_waitcnt lgkmcnt(0)
	v_add_f32_e32 v3, v3, v6
	v_cndmask_b32_e32 v6, v2, v7, vcc
	v_lshlrev_b32_e32 v6, 2, v6
	ds_bpermute_b32 v7, v6, v3
	v_cmp_lt_i32_e32 vcc, v9, v8
	;; [unrolled: 6-line block ×3, first 2 shown]
	s_waitcnt lgkmcnt(0)
	v_add_f32_e32 v3, v3, v9
	v_cndmask_b32_e32 v2, v2, v10, vcc
	v_lshlrev_b32_e32 v8, 2, v2
	ds_bpermute_b32 v9, v8, v3
	v_and_b32_e32 v2, 63, v0
	v_cmp_eq_u32_e64 s[4:5], 0, v2
	v_lshrrev_b32_e32 v10, 4, v0
	s_and_saveexec_b64 s[2:3], s[4:5]
	s_cbranch_execz .LBB4_6
; %bb.5:
	s_waitcnt lgkmcnt(0)
	v_add_f32_e32 v3, v3, v9
	ds_write_b32 v10, v3
.LBB4_6:
	s_or_b64 exec, exec, s[2:3]
	s_waitcnt lgkmcnt(0)
	s_barrier
	s_load_dword s18, s[0:1], 0x3c
	v_mov_b32_e32 v3, 0
	v_lshlrev_b32_e32 v11, 2, v2
	s_waitcnt lgkmcnt(0)
	s_bfe_u32 s0, s18, 0xa0006
	v_cmp_gt_u32_e64 s[0:1], s0, v0
	s_and_saveexec_b64 s[2:3], s[0:1]
; %bb.7:
	ds_read_b32 v3, v11
; %bb.8:
	s_or_b64 exec, exec, s[2:3]
	s_waitcnt lgkmcnt(0)
	ds_bpermute_b32 v2, v1, v3
	v_cvt_f32_i32_e32 v9, s17
	v_cmp_eq_u32_e64 s[6:7], 0, v0
	s_waitcnt lgkmcnt(0)
	v_add_f32_e32 v2, v3, v2
	ds_bpermute_b32 v3, v4, v2
	s_waitcnt lgkmcnt(0)
	v_add_f32_e32 v2, v2, v3
	ds_bpermute_b32 v3, v5, v2
	;; [unrolled: 3-line block ×5, first 2 shown]
	s_and_saveexec_b64 s[2:3], s[6:7]
	s_cbranch_execz .LBB4_10
; %bb.9:
	s_waitcnt lgkmcnt(0)
	v_add_f32_e32 v2, v2, v3
	v_div_scale_f32 v3, s[22:23], v9, v9, v2
	v_rcp_f32_e32 v12, v3
	v_div_scale_f32 v13, vcc, v2, v9, v2
	v_fma_f32 v14, -v3, v12, 1.0
	v_fmac_f32_e32 v12, v14, v12
	v_mul_f32_e32 v14, v13, v12
	v_fma_f32 v15, -v3, v14, v13
	v_fmac_f32_e32 v14, v15, v12
	v_fma_f32 v3, -v3, v14, v13
	v_div_fmas_f32 v3, v3, v12, v14
	v_div_fixup_f32 v2, v3, v9, v2
	v_mov_b32_e32 v3, 0
	ds_write_b32 v3, v2 offset:68
.LBB4_10:
	s_or_b64 exec, exec, s[2:3]
	s_and_b32 s17, 0xffff, s18
	v_mov_b32_e32 v12, 0
	s_waitcnt lgkmcnt(0)
	s_barrier
	s_and_saveexec_b64 s[2:3], s[8:9]
	s_cbranch_execz .LBB4_14
; %bb.11:
	v_mov_b32_e32 v12, 0
	ds_read_b32 v2, v12 offset:68
	s_lshr_b32 s22, s21, 1
	s_mov_b64 s[18:19], 0
	v_mov_b32_e32 v13, v0
	s_waitcnt lgkmcnt(0)
	v_mov_b32_e32 v3, v2
.LBB4_12:                               ; =>This Inner Loop Header: Depth=1
	v_add_u32_e32 v14, s22, v13
	v_ashrrev_i32_e32 v15, 31, v14
	v_lshl_add_u64 v[14:15], v[14:15], 3, s[10:11]
	global_load_dwordx2 v[14:15], v[14:15], off
	v_add_u32_e32 v13, s17, v13
	v_cmp_le_i32_e32 vcc, s20, v13
	s_or_b64 s[18:19], vcc, s[18:19]
	s_waitcnt vmcnt(0)
	v_pk_add_f32 v[14:15], v[14:15], v[2:3] neg_lo:[0,1] neg_hi:[0,1]
	s_nop 0
	v_pk_mul_f32 v[14:15], v[14:15], v[14:15]
	s_nop 0
	v_add_f32_e32 v12, v12, v14
	v_add_f32_e32 v12, v15, v12
	s_andn2_b64 exec, exec, s[18:19]
	s_cbranch_execnz .LBB4_12
; %bb.13:
	s_or_b64 exec, exec, s[18:19]
.LBB4_14:
	s_or_b64 exec, exec, s[2:3]
	ds_bpermute_b32 v2, v1, v12
	s_waitcnt lgkmcnt(0)
	v_add_f32_e32 v2, v12, v2
	ds_bpermute_b32 v3, v4, v2
	s_waitcnt lgkmcnt(0)
	v_add_f32_e32 v2, v2, v3
	;; [unrolled: 3-line block ×5, first 2 shown]
	ds_bpermute_b32 v3, v8, v2
	s_and_saveexec_b64 s[2:3], s[4:5]
	s_cbranch_execz .LBB4_16
; %bb.15:
	s_waitcnt lgkmcnt(0)
	v_add_f32_e32 v2, v2, v3
	ds_write_b32 v10, v2
.LBB4_16:
	s_or_b64 exec, exec, s[2:3]
	v_mov_b32_e32 v2, 0
	s_waitcnt lgkmcnt(0)
	s_barrier
	s_and_saveexec_b64 s[2:3], s[0:1]
; %bb.17:
	ds_read_b32 v2, v11
; %bb.18:
	s_or_b64 exec, exec, s[2:3]
	s_waitcnt lgkmcnt(0)
	ds_bpermute_b32 v1, v1, v2
	s_waitcnt lgkmcnt(0)
	v_add_f32_e32 v1, v2, v1
	ds_bpermute_b32 v2, v4, v1
	s_waitcnt lgkmcnt(0)
	v_add_f32_e32 v1, v1, v2
	ds_bpermute_b32 v2, v5, v1
	s_waitcnt lgkmcnt(0)
	v_add_f32_e32 v1, v1, v2
	ds_bpermute_b32 v2, v6, v1
	s_waitcnt lgkmcnt(0)
	v_add_f32_e32 v1, v1, v2
	ds_bpermute_b32 v2, v7, v1
	s_waitcnt lgkmcnt(0)
	v_add_f32_e32 v1, v1, v2
	ds_bpermute_b32 v2, v8, v1
	s_and_saveexec_b64 s[0:1], s[6:7]
	s_cbranch_execz .LBB4_20
; %bb.19:
	s_waitcnt lgkmcnt(0)
	v_add_f32_e32 v1, v1, v2
	v_div_scale_f32 v2, s[2:3], v9, v9, v1
	v_rcp_f32_e32 v3, v2
	v_div_scale_f32 v4, vcc, v1, v9, v1
	s_mov_b32 s2, 0x800000
	v_fma_f32 v5, -v2, v3, 1.0
	v_fmac_f32_e32 v3, v5, v3
	v_mul_f32_e32 v5, v4, v3
	v_fma_f32 v6, -v2, v5, v4
	v_fmac_f32_e32 v5, v6, v3
	v_fma_f32 v2, -v2, v5, v4
	v_div_fmas_f32 v2, v2, v3, v5
	v_div_fixup_f32 v1, v2, v9, v1
	v_add_f32_e32 v1, s16, v1
	v_mul_f32_e32 v2, 0x4b800000, v1
	v_cmp_gt_f32_e32 vcc, s2, v1
	s_nop 1
	v_cndmask_b32_e32 v1, v1, v2, vcc
	v_rsq_f32_e32 v1, v1
	s_nop 0
	v_mul_f32_e32 v2, 0x45800000, v1
	v_cndmask_b32_e32 v1, v1, v2, vcc
	v_mov_b32_e32 v2, 0
	ds_write_b32 v2, v1 offset:64
.LBB4_20:
	s_or_b64 exec, exec, s[0:1]
	s_waitcnt lgkmcnt(0)
	s_barrier
	s_and_saveexec_b64 s[0:1], s[8:9]
	s_cbranch_execz .LBB4_30
; %bb.21:
	v_mov_b32_e32 v1, 0
	ds_read_b64 v[2:3], v1 offset:64
	v_add_u32_e32 v1, 1, v0
	v_max_i32_e32 v4, s20, v1
	v_sub_u32_e32 v12, v4, v0
	s_lshr_b32 s8, s21, 1
	v_cmp_gt_u32_e64 s[2:3], 6, v12
	v_cmp_lt_u32_e32 vcc, 5, v12
	s_and_saveexec_b64 s[4:5], vcc
	s_cbranch_execz .LBB4_27
; %bb.22:
	v_cvt_f32_u32_e32 v4, s17
	v_add_u32_e32 v5, s17, v0
	v_mov_b32_e32 v6, s17
	v_cmp_gt_i32_e32 vcc, s20, v5
	v_rcp_iflag_f32_e32 v4, v4
	s_cmp_eq_u32 s17, 1
	v_max_i32_e32 v7, s20, v5
	v_addc_co_u32_e64 v5, s[0:1], v0, v6, vcc
	v_mul_f32_e32 v4, 0x4f7ffffe, v4
	v_cvt_u32_f32_e32 v4, v4
	s_cselect_b64 s[6:7], -1, 0
	s_sub_i32 s0, 0, s17
	v_sub_u32_e32 v5, v7, v5
	v_mul_lo_u32 v6, s0, v4
	v_mul_hi_u32 v6, v4, v6
	v_add_u32_e32 v4, v4, v6
	v_mul_hi_u32 v4, v5, v4
	v_mul_lo_u32 v6, v4, s17
	v_sub_u32_e32 v5, v5, v6
	v_add_u32_e32 v6, 1, v4
	v_cmp_le_u32_e64 s[0:1], s17, v5
	s_nop 1
	v_cndmask_b32_e64 v4, v4, v6, s[0:1]
	v_subrev_u32_e32 v6, s17, v5
	v_cndmask_b32_e64 v5, v5, v6, s[0:1]
	v_add_u32_e32 v6, 1, v4
	v_cmp_le_u32_e64 s[0:1], s17, v5
	v_add_u32_e32 v5, s8, v0
	s_nop 0
	v_cndmask_b32_e64 v4, v4, v6, s[0:1]
	v_addc_co_u32_e32 v4, vcc, v5, v4, vcc
	v_cmp_ge_i32_e32 vcc, v4, v5
	s_and_b64 s[18:19], s[6:7], vcc
	s_mov_b64 s[6:7], -1
	s_and_saveexec_b64 s[0:1], s[18:19]
	s_cbranch_execz .LBB4_26
; %bb.23:
	v_and_b32_e32 v13, -2, v12
	s_mov_b32 s9, s8
	s_waitcnt lgkmcnt(0)
	v_mov_b32_e32 v4, v3
	v_mov_b32_e32 v5, v3
	v_mov_b32_e32 v6, v2
	v_mov_b32_e32 v7, v2
	s_mov_b64 s[6:7], 0
	v_mov_b32_e32 v9, 0
	v_mov_b32_e32 v14, v13
	v_mov_b64_e32 v[10:11], v[0:1]
.LBB4_24:                               ; =>This Inner Loop Header: Depth=1
	v_add_u32_e32 v16, s8, v10
	v_add_u32_e32 v18, s9, v11
	v_ashrrev_i32_e32 v17, 31, v16
	v_mov_b32_e32 v8, v10
	v_ashrrev_i32_e32 v19, 31, v18
	v_lshl_add_u64 v[16:17], v[16:17], 3, s[10:11]
	v_lshlrev_b64 v[20:21], 3, v[8:9]
	v_mov_b32_e32 v8, v11
	v_lshl_add_u64 v[18:19], v[18:19], 3, s[10:11]
	global_load_dwordx2 v[26:27], v[16:17], off
	global_load_dwordx2 v[28:29], v[18:19], off
	v_lshl_add_u64 v[22:23], s[12:13], 0, v[20:21]
	v_lshlrev_b64 v[24:25], 3, v[8:9]
	v_lshl_add_u64 v[20:21], s[14:15], 0, v[20:21]
	v_lshl_add_u64 v[30:31], s[12:13], 0, v[24:25]
	global_load_dwordx2 v[22:23], v[22:23], off
	v_lshl_add_u64 v[24:25], s[14:15], 0, v[24:25]
	global_load_dwordx2 v[32:33], v[20:21], off
	global_load_dwordx2 v[34:35], v[30:31], off
	;; [unrolled: 1-line block ×3, first 2 shown]
	v_add_u32_e32 v14, -2, v14
	v_cmp_eq_u32_e32 vcc, 0, v14
	v_add_u32_e32 v10, 2, v10
	v_add_u32_e32 v11, 2, v11
	s_or_b64 s[6:7], vcc, s[6:7]
	s_waitcnt vmcnt(5)
	v_mov_b32_e32 v20, v26
	s_waitcnt vmcnt(4)
	v_mov_b32_e32 v21, v28
	v_mov_b32_e32 v28, v27
	v_pk_add_f32 v[20:21], v[20:21], v[4:5] neg_lo:[0,1] neg_hi:[0,1]
	v_pk_add_f32 v[26:27], v[28:29], v[4:5] neg_lo:[0,1] neg_hi:[0,1]
	v_pk_mul_f32 v[20:21], v[20:21], v[6:7]
	s_waitcnt vmcnt(3)
	v_mov_b32_e32 v24, v22
	s_waitcnt vmcnt(2)
	v_mov_b32_e32 v22, v32
	;; [unrolled: 2-line block ×3, first 2 shown]
	v_mov_b32_e32 v34, v23
	s_waitcnt vmcnt(0)
	v_mov_b32_e32 v23, v36
	v_mov_b32_e32 v36, v33
	v_pk_mul_f32 v[26:27], v[26:27], v[6:7]
	v_pk_fma_f32 v[20:21], v[24:25], v[20:21], v[22:23]
	v_pk_fma_f32 v[22:23], v[34:35], v[26:27], v[36:37]
	v_mov_b32_e32 v24, v20
	v_mov_b32_e32 v25, v22
	;; [unrolled: 1-line block ×3, first 2 shown]
	global_store_dwordx2 v[16:17], v[24:25], off
	global_store_dwordx2 v[18:19], v[22:23], off
	s_andn2_b64 exec, exec, s[6:7]
	s_cbranch_execnz .LBB4_24
; %bb.25:
	s_or_b64 exec, exec, s[6:7]
	v_cmp_ne_u32_e32 vcc, v12, v13
	v_add_u32_e32 v0, v0, v13
	s_orn2_b64 s[6:7], vcc, exec
.LBB4_26:
	s_or_b64 exec, exec, s[0:1]
	s_andn2_b64 s[0:1], s[2:3], exec
	s_and_b64 s[2:3], s[6:7], exec
	s_or_b64 s[2:3], s[0:1], s[2:3]
.LBB4_27:
	s_or_b64 exec, exec, s[4:5]
	s_and_b64 exec, exec, s[2:3]
	s_cbranch_execz .LBB4_30
; %bb.28:
	v_mov_b32_e32 v1, 0
	s_waitcnt lgkmcnt(0)
	v_mov_b32_e32 v4, v3
	v_mov_b32_e32 v5, v3
	;; [unrolled: 1-line block ×3, first 2 shown]
	s_mov_b32 s1, 0
	v_lshlrev_b64 v[6:7], 3, v[0:1]
	s_lshl_b32 s0, s17, 3
	s_mov_b64 s[2:3], 0
.LBB4_29:                               ; =>This Inner Loop Header: Depth=1
	v_add_u32_e32 v8, s8, v0
	v_ashrrev_i32_e32 v9, 31, v8
	v_lshl_add_u64 v[8:9], v[8:9], 3, s[10:11]
	v_lshl_add_u64 v[10:11], s[12:13], 0, v[6:7]
	;; [unrolled: 1-line block ×3, first 2 shown]
	global_load_dwordx2 v[14:15], v[8:9], off
	global_load_dwordx2 v[16:17], v[10:11], off
	global_load_dwordx2 v[18:19], v[12:13], off
	v_add_u32_e32 v0, s17, v0
	v_cmp_le_i32_e32 vcc, s20, v0
	v_lshl_add_u64 v[6:7], v[6:7], 0, s[0:1]
	s_or_b64 s[2:3], vcc, s[2:3]
	s_waitcnt vmcnt(2)
	v_pk_add_f32 v[10:11], v[14:15], v[4:5] neg_lo:[0,1] neg_hi:[0,1]
	s_nop 0
	v_pk_mul_f32 v[10:11], v[10:11], v[2:3]
	s_waitcnt vmcnt(0)
	v_pk_fma_f32 v[10:11], v[16:17], v[10:11], v[18:19]
	global_store_dwordx2 v[8:9], v[10:11], off
	s_andn2_b64 exec, exec, s[2:3]
	s_cbranch_execnz .LBB4_29
.LBB4_30:
	s_endpgm
	.section	.rodata,"a",@progbits
	.p2align	6, 0x0
	.amdhsa_kernel _Z35generalAddBiasResidualPostLayerNormIfLi64EEvPT_PKS0_S3_S3_S3_fi
		.amdhsa_group_segment_fixed_size 72
		.amdhsa_private_segment_fixed_size 0
		.amdhsa_kernarg_size 304
		.amdhsa_user_sgpr_count 2
		.amdhsa_user_sgpr_dispatch_ptr 0
		.amdhsa_user_sgpr_queue_ptr 0
		.amdhsa_user_sgpr_kernarg_segment_ptr 1
		.amdhsa_user_sgpr_dispatch_id 0
		.amdhsa_user_sgpr_kernarg_preload_length 0
		.amdhsa_user_sgpr_kernarg_preload_offset 0
		.amdhsa_user_sgpr_private_segment_size 0
		.amdhsa_uses_dynamic_stack 0
		.amdhsa_enable_private_segment 0
		.amdhsa_system_sgpr_workgroup_id_x 1
		.amdhsa_system_sgpr_workgroup_id_y 0
		.amdhsa_system_sgpr_workgroup_id_z 0
		.amdhsa_system_sgpr_workgroup_info 0
		.amdhsa_system_vgpr_workitem_id 0
		.amdhsa_next_free_vgpr 38
		.amdhsa_next_free_sgpr 24
		.amdhsa_accum_offset 40
		.amdhsa_reserve_vcc 1
		.amdhsa_float_round_mode_32 0
		.amdhsa_float_round_mode_16_64 0
		.amdhsa_float_denorm_mode_32 3
		.amdhsa_float_denorm_mode_16_64 3
		.amdhsa_dx10_clamp 1
		.amdhsa_ieee_mode 1
		.amdhsa_fp16_overflow 0
		.amdhsa_tg_split 0
		.amdhsa_exception_fp_ieee_invalid_op 0
		.amdhsa_exception_fp_denorm_src 0
		.amdhsa_exception_fp_ieee_div_zero 0
		.amdhsa_exception_fp_ieee_overflow 0
		.amdhsa_exception_fp_ieee_underflow 0
		.amdhsa_exception_fp_ieee_inexact 0
		.amdhsa_exception_int_div_zero 0
	.end_amdhsa_kernel
	.section	.text._Z35generalAddBiasResidualPostLayerNormIfLi64EEvPT_PKS0_S3_S3_S3_fi,"axG",@progbits,_Z35generalAddBiasResidualPostLayerNormIfLi64EEvPT_PKS0_S3_S3_S3_fi,comdat
.Lfunc_end4:
	.size	_Z35generalAddBiasResidualPostLayerNormIfLi64EEvPT_PKS0_S3_S3_S3_fi, .Lfunc_end4-_Z35generalAddBiasResidualPostLayerNormIfLi64EEvPT_PKS0_S3_S3_S3_fi
                                        ; -- End function
	.set _Z35generalAddBiasResidualPostLayerNormIfLi64EEvPT_PKS0_S3_S3_S3_fi.num_vgpr, 38
	.set _Z35generalAddBiasResidualPostLayerNormIfLi64EEvPT_PKS0_S3_S3_S3_fi.num_agpr, 0
	.set _Z35generalAddBiasResidualPostLayerNormIfLi64EEvPT_PKS0_S3_S3_S3_fi.numbered_sgpr, 24
	.set _Z35generalAddBiasResidualPostLayerNormIfLi64EEvPT_PKS0_S3_S3_S3_fi.num_named_barrier, 0
	.set _Z35generalAddBiasResidualPostLayerNormIfLi64EEvPT_PKS0_S3_S3_S3_fi.private_seg_size, 0
	.set _Z35generalAddBiasResidualPostLayerNormIfLi64EEvPT_PKS0_S3_S3_S3_fi.uses_vcc, 1
	.set _Z35generalAddBiasResidualPostLayerNormIfLi64EEvPT_PKS0_S3_S3_S3_fi.uses_flat_scratch, 0
	.set _Z35generalAddBiasResidualPostLayerNormIfLi64EEvPT_PKS0_S3_S3_S3_fi.has_dyn_sized_stack, 0
	.set _Z35generalAddBiasResidualPostLayerNormIfLi64EEvPT_PKS0_S3_S3_S3_fi.has_recursion, 0
	.set _Z35generalAddBiasResidualPostLayerNormIfLi64EEvPT_PKS0_S3_S3_S3_fi.has_indirect_call, 0
	.section	.AMDGPU.csdata,"",@progbits
; Kernel info:
; codeLenInByte = 2132
; TotalNumSgprs: 30
; NumVgprs: 38
; NumAgprs: 0
; TotalNumVgprs: 38
; ScratchSize: 0
; MemoryBound: 0
; FloatMode: 240
; IeeeMode: 1
; LDSByteSize: 72 bytes/workgroup (compile time only)
; SGPRBlocks: 3
; VGPRBlocks: 4
; NumSGPRsForWavesPerEU: 30
; NumVGPRsForWavesPerEU: 38
; AccumOffset: 40
; Occupancy: 8
; WaveLimiterHint : 0
; COMPUTE_PGM_RSRC2:SCRATCH_EN: 0
; COMPUTE_PGM_RSRC2:USER_SGPR: 2
; COMPUTE_PGM_RSRC2:TRAP_HANDLER: 0
; COMPUTE_PGM_RSRC2:TGID_X_EN: 1
; COMPUTE_PGM_RSRC2:TGID_Y_EN: 0
; COMPUTE_PGM_RSRC2:TGID_Z_EN: 0
; COMPUTE_PGM_RSRC2:TIDIG_COMP_CNT: 0
; COMPUTE_PGM_RSRC3_GFX90A:ACCUM_OFFSET: 9
; COMPUTE_PGM_RSRC3_GFX90A:TG_SPLIT: 0
	.section	.text._Z28addBiasResidualPostLayerNormIfLi1ELi32EEvPT_PKS0_S3_S3_S3_fi,"axG",@progbits,_Z28addBiasResidualPostLayerNormIfLi1ELi32EEvPT_PKS0_S3_S3_S3_fi,comdat
	.protected	_Z28addBiasResidualPostLayerNormIfLi1ELi32EEvPT_PKS0_S3_S3_S3_fi ; -- Begin function _Z28addBiasResidualPostLayerNormIfLi1ELi32EEvPT_PKS0_S3_S3_S3_fi
	.globl	_Z28addBiasResidualPostLayerNormIfLi1ELi32EEvPT_PKS0_S3_S3_S3_fi
	.p2align	8
	.type	_Z28addBiasResidualPostLayerNormIfLi1ELi32EEvPT_PKS0_S3_S3_S3_fi,@function
_Z28addBiasResidualPostLayerNormIfLi1ELi32EEvPT_PKS0_S3_S3_S3_fi: ; @_Z28addBiasResidualPostLayerNormIfLi1ELi32EEvPT_PKS0_S3_S3_S3_fi
; %bb.0:
	s_load_dwordx2 s[14:15], s[0:1], 0x28
	s_load_dwordx2 s[12:13], s[0:1], 0x0
	v_mov_b32_e32 v5, 0
	v_lshlrev_b32_e32 v1, 2, v0
                                        ; implicit-def: $vgpr4
	s_waitcnt lgkmcnt(0)
	s_mul_i32 s2, s15, s2
	v_cmp_gt_i32_e64 s[10:11], s15, v0
	v_add_u32_e32 v2, s2, v0
	s_and_saveexec_b64 s[2:3], s[10:11]
	s_cbranch_execz .LBB5_2
; %bb.1:
	s_load_dwordx4 s[4:7], s[0:1], 0x8
	v_mov_b32_e32 v3, 0
	v_lshlrev_b64 v[4:5], 2, v[2:3]
	v_lshl_add_u64 v[6:7], s[12:13], 0, v[4:5]
	global_load_dword v3, v[6:7], off
	s_waitcnt lgkmcnt(0)
	v_lshl_add_u64 v[4:5], s[4:5], 0, v[4:5]
	global_load_dword v6, v[4:5], off
	global_load_dword v7, v1, s[6:7]
	s_waitcnt vmcnt(1)
	v_add_f32_e32 v3, v3, v6
	s_waitcnt vmcnt(0)
	v_add_f32_e32 v4, v3, v7
	v_add_f32_e32 v5, 0, v4
.LBB5_2:
	s_or_b64 exec, exec, s[2:3]
	v_mbcnt_lo_u32_b32 v3, -1, 0
	v_mbcnt_hi_u32_b32 v8, -1, v3
	v_and_b32_e32 v3, 0x60, v8
	v_add_u32_e32 v9, 32, v3
	v_xor_b32_e32 v3, 16, v8
	v_cmp_lt_i32_e32 vcc, v3, v9
	v_xor_b32_e32 v7, 8, v8
	v_xor_b32_e32 v10, 4, v8
	v_cndmask_b32_e32 v3, v8, v3, vcc
	v_lshlrev_b32_e32 v3, 2, v3
	ds_bpermute_b32 v6, v3, v5
	v_cmp_lt_i32_e32 vcc, v7, v9
	v_xor_b32_e32 v11, 2, v8
	v_xor_b32_e32 v12, 1, v8
	s_waitcnt lgkmcnt(0)
	v_add_f32_e32 v6, v5, v6
	v_cndmask_b32_e32 v5, v8, v7, vcc
	v_lshlrev_b32_e32 v5, 2, v5
	ds_bpermute_b32 v7, v5, v6
	v_cmp_lt_i32_e32 vcc, v10, v9
	s_waitcnt lgkmcnt(0)
	v_add_f32_e32 v7, v6, v7
	v_cndmask_b32_e32 v6, v8, v10, vcc
	v_lshlrev_b32_e32 v6, 2, v6
	ds_bpermute_b32 v10, v6, v7
	v_cmp_lt_i32_e32 vcc, v11, v9
	;; [unrolled: 6-line block ×3, first 2 shown]
	v_and_b32_e32 v9, 31, v0
	v_cmp_eq_u32_e64 s[4:5], 0, v9
	v_cndmask_b32_e32 v8, v8, v12, vcc
	s_waitcnt lgkmcnt(0)
	v_add_f32_e32 v11, v10, v11
	v_lshlrev_b32_e32 v8, 2, v8
	ds_bpermute_b32 v12, v8, v11
	v_lshrrev_b32_e32 v10, 3, v0
	s_and_saveexec_b64 s[2:3], s[4:5]
	s_cbranch_execz .LBB5_4
; %bb.3:
	s_waitcnt lgkmcnt(0)
	v_add_f32_e32 v11, v11, v12
	ds_write_b32 v10, v11
.LBB5_4:
	s_or_b64 exec, exec, s[2:3]
	s_waitcnt lgkmcnt(0)
	s_barrier
	s_load_dword s2, s[0:1], 0x3c
	v_mov_b32_e32 v12, 0
	v_lshlrev_b32_e32 v11, 2, v9
	s_waitcnt lgkmcnt(0)
	s_bfe_u32 s2, s2, 0xb0005
	v_cmp_gt_u32_e64 s[6:7], s2, v0
	s_and_saveexec_b64 s[2:3], s[6:7]
; %bb.5:
	ds_read_b32 v12, v11
; %bb.6:
	s_or_b64 exec, exec, s[2:3]
	s_waitcnt lgkmcnt(0)
	ds_bpermute_b32 v9, v3, v12
	v_cmp_eq_u32_e64 s[8:9], 0, v0
	s_waitcnt lgkmcnt(0)
	v_add_f32_e32 v9, v12, v9
	ds_bpermute_b32 v12, v5, v9
	s_waitcnt lgkmcnt(0)
	v_add_f32_e32 v9, v9, v12
	ds_bpermute_b32 v12, v6, v9
	;; [unrolled: 3-line block ×4, first 2 shown]
	v_cvt_f32_i32_e32 v9, s15
	s_and_saveexec_b64 s[2:3], s[8:9]
	s_cbranch_execz .LBB5_8
; %bb.7:
	s_waitcnt lgkmcnt(0)
	v_add_f32_e32 v0, v12, v13
	v_div_scale_f32 v12, s[16:17], v9, v9, v0
	v_rcp_f32_e32 v13, v12
	v_div_scale_f32 v14, vcc, v0, v9, v0
	v_fma_f32 v15, -v12, v13, 1.0
	v_fmac_f32_e32 v13, v15, v13
	v_mul_f32_e32 v15, v14, v13
	v_fma_f32 v16, -v12, v15, v14
	v_fmac_f32_e32 v15, v16, v13
	v_fma_f32 v12, -v12, v15, v14
	v_div_fmas_f32 v12, v12, v13, v15
	v_div_fixup_f32 v0, v12, v9, v0
	v_mov_b32_e32 v12, 0
	ds_write_b32 v12, v0 offset:132
.LBB5_8:
	s_or_b64 exec, exec, s[2:3]
	v_mov_b32_e32 v0, 0
	s_waitcnt lgkmcnt(0)
	s_barrier
	ds_read_b32 v12, v0 offset:132
	s_waitcnt lgkmcnt(0)
	v_sub_f32_e32 v12, v4, v12
	v_mul_f32_e32 v12, v12, v12
	v_cndmask_b32_e64 v12, 0, v12, s[10:11]
	ds_bpermute_b32 v13, v3, v12
	s_waitcnt lgkmcnt(0)
	v_add_f32_e32 v12, v12, v13
	ds_bpermute_b32 v13, v5, v12
	s_waitcnt lgkmcnt(0)
	v_add_f32_e32 v12, v12, v13
	;; [unrolled: 3-line block ×4, first 2 shown]
	ds_bpermute_b32 v13, v8, v12
	s_and_saveexec_b64 s[2:3], s[4:5]
	s_cbranch_execz .LBB5_10
; %bb.9:
	s_waitcnt lgkmcnt(0)
	v_add_f32_e32 v12, v12, v13
	ds_write_b32 v10, v12
.LBB5_10:
	s_or_b64 exec, exec, s[2:3]
	s_waitcnt lgkmcnt(0)
	s_barrier
	s_and_saveexec_b64 s[2:3], s[6:7]
; %bb.11:
	ds_read_b32 v0, v11
; %bb.12:
	s_or_b64 exec, exec, s[2:3]
	s_waitcnt lgkmcnt(0)
	ds_bpermute_b32 v3, v3, v0
	s_waitcnt lgkmcnt(0)
	v_add_f32_e32 v0, v0, v3
	ds_bpermute_b32 v3, v5, v0
	s_waitcnt lgkmcnt(0)
	v_add_f32_e32 v0, v0, v3
	;; [unrolled: 3-line block ×4, first 2 shown]
	ds_bpermute_b32 v3, v8, v0
	s_and_saveexec_b64 s[2:3], s[8:9]
	s_cbranch_execz .LBB5_14
; %bb.13:
	s_waitcnt lgkmcnt(0)
	v_add_f32_e32 v0, v0, v3
	v_div_scale_f32 v3, s[4:5], v9, v9, v0
	v_rcp_f32_e32 v5, v3
	v_div_scale_f32 v6, vcc, v0, v9, v0
	v_fma_f32 v7, -v3, v5, 1.0
	v_fmac_f32_e32 v5, v7, v5
	v_mul_f32_e32 v7, v6, v5
	v_fma_f32 v8, -v3, v7, v6
	v_fmac_f32_e32 v7, v8, v5
	v_fma_f32 v3, -v3, v7, v6
	v_div_fmas_f32 v3, v3, v5, v7
	v_div_fixup_f32 v0, v3, v9, v0
	v_add_f32_e32 v0, s14, v0
	v_mov_b32_e32 v3, 0
	ds_write_b32 v3, v0 offset:128
.LBB5_14:
	s_or_b64 exec, exec, s[2:3]
	s_waitcnt lgkmcnt(0)
	s_barrier
	s_and_saveexec_b64 s[2:3], s[10:11]
	s_cbranch_execz .LBB5_16
; %bb.15:
	s_load_dwordx4 s[4:7], s[0:1], 0x18
	v_mov_b32_e32 v3, 0
	s_mov_b32 s0, 0x800000
	s_waitcnt lgkmcnt(0)
	global_load_dword v5, v1, s[4:5]
	global_load_dword v6, v1, s[6:7]
	ds_read_b64 v[0:1], v3 offset:128
	s_waitcnt lgkmcnt(0)
	v_mul_f32_e32 v7, 0x4b800000, v0
	v_cmp_gt_f32_e32 vcc, s0, v0
	v_sub_f32_e32 v1, v4, v1
	s_nop 0
	v_cndmask_b32_e32 v0, v0, v7, vcc
	v_rsq_f32_e32 v0, v0
	s_nop 0
	v_mul_f32_e32 v4, 0x45800000, v0
	v_cndmask_b32_e32 v0, v0, v4, vcc
	v_mul_f32_e32 v0, v1, v0
	s_waitcnt vmcnt(0)
	v_fmac_f32_e32 v6, v5, v0
	v_lshl_add_u64 v[0:1], v[2:3], 2, s[12:13]
	global_store_dword v[0:1], v6, off
.LBB5_16:
	s_endpgm
	.section	.rodata,"a",@progbits
	.p2align	6, 0x0
	.amdhsa_kernel _Z28addBiasResidualPostLayerNormIfLi1ELi32EEvPT_PKS0_S3_S3_S3_fi
		.amdhsa_group_segment_fixed_size 136
		.amdhsa_private_segment_fixed_size 0
		.amdhsa_kernarg_size 304
		.amdhsa_user_sgpr_count 2
		.amdhsa_user_sgpr_dispatch_ptr 0
		.amdhsa_user_sgpr_queue_ptr 0
		.amdhsa_user_sgpr_kernarg_segment_ptr 1
		.amdhsa_user_sgpr_dispatch_id 0
		.amdhsa_user_sgpr_kernarg_preload_length 0
		.amdhsa_user_sgpr_kernarg_preload_offset 0
		.amdhsa_user_sgpr_private_segment_size 0
		.amdhsa_uses_dynamic_stack 0
		.amdhsa_enable_private_segment 0
		.amdhsa_system_sgpr_workgroup_id_x 1
		.amdhsa_system_sgpr_workgroup_id_y 0
		.amdhsa_system_sgpr_workgroup_id_z 0
		.amdhsa_system_sgpr_workgroup_info 0
		.amdhsa_system_vgpr_workitem_id 0
		.amdhsa_next_free_vgpr 17
		.amdhsa_next_free_sgpr 18
		.amdhsa_accum_offset 20
		.amdhsa_reserve_vcc 1
		.amdhsa_float_round_mode_32 0
		.amdhsa_float_round_mode_16_64 0
		.amdhsa_float_denorm_mode_32 3
		.amdhsa_float_denorm_mode_16_64 3
		.amdhsa_dx10_clamp 1
		.amdhsa_ieee_mode 1
		.amdhsa_fp16_overflow 0
		.amdhsa_tg_split 0
		.amdhsa_exception_fp_ieee_invalid_op 0
		.amdhsa_exception_fp_denorm_src 0
		.amdhsa_exception_fp_ieee_div_zero 0
		.amdhsa_exception_fp_ieee_overflow 0
		.amdhsa_exception_fp_ieee_underflow 0
		.amdhsa_exception_fp_ieee_inexact 0
		.amdhsa_exception_int_div_zero 0
	.end_amdhsa_kernel
	.section	.text._Z28addBiasResidualPostLayerNormIfLi1ELi32EEvPT_PKS0_S3_S3_S3_fi,"axG",@progbits,_Z28addBiasResidualPostLayerNormIfLi1ELi32EEvPT_PKS0_S3_S3_S3_fi,comdat
.Lfunc_end5:
	.size	_Z28addBiasResidualPostLayerNormIfLi1ELi32EEvPT_PKS0_S3_S3_S3_fi, .Lfunc_end5-_Z28addBiasResidualPostLayerNormIfLi1ELi32EEvPT_PKS0_S3_S3_S3_fi
                                        ; -- End function
	.set _Z28addBiasResidualPostLayerNormIfLi1ELi32EEvPT_PKS0_S3_S3_S3_fi.num_vgpr, 17
	.set _Z28addBiasResidualPostLayerNormIfLi1ELi32EEvPT_PKS0_S3_S3_S3_fi.num_agpr, 0
	.set _Z28addBiasResidualPostLayerNormIfLi1ELi32EEvPT_PKS0_S3_S3_S3_fi.numbered_sgpr, 18
	.set _Z28addBiasResidualPostLayerNormIfLi1ELi32EEvPT_PKS0_S3_S3_S3_fi.num_named_barrier, 0
	.set _Z28addBiasResidualPostLayerNormIfLi1ELi32EEvPT_PKS0_S3_S3_S3_fi.private_seg_size, 0
	.set _Z28addBiasResidualPostLayerNormIfLi1ELi32EEvPT_PKS0_S3_S3_S3_fi.uses_vcc, 1
	.set _Z28addBiasResidualPostLayerNormIfLi1ELi32EEvPT_PKS0_S3_S3_S3_fi.uses_flat_scratch, 0
	.set _Z28addBiasResidualPostLayerNormIfLi1ELi32EEvPT_PKS0_S3_S3_S3_fi.has_dyn_sized_stack, 0
	.set _Z28addBiasResidualPostLayerNormIfLi1ELi32EEvPT_PKS0_S3_S3_S3_fi.has_recursion, 0
	.set _Z28addBiasResidualPostLayerNormIfLi1ELi32EEvPT_PKS0_S3_S3_S3_fi.has_indirect_call, 0
	.section	.AMDGPU.csdata,"",@progbits
; Kernel info:
; codeLenInByte = 1108
; TotalNumSgprs: 24
; NumVgprs: 17
; NumAgprs: 0
; TotalNumVgprs: 17
; ScratchSize: 0
; MemoryBound: 0
; FloatMode: 240
; IeeeMode: 1
; LDSByteSize: 136 bytes/workgroup (compile time only)
; SGPRBlocks: 2
; VGPRBlocks: 2
; NumSGPRsForWavesPerEU: 24
; NumVGPRsForWavesPerEU: 17
; AccumOffset: 20
; Occupancy: 8
; WaveLimiterHint : 0
; COMPUTE_PGM_RSRC2:SCRATCH_EN: 0
; COMPUTE_PGM_RSRC2:USER_SGPR: 2
; COMPUTE_PGM_RSRC2:TRAP_HANDLER: 0
; COMPUTE_PGM_RSRC2:TGID_X_EN: 1
; COMPUTE_PGM_RSRC2:TGID_Y_EN: 0
; COMPUTE_PGM_RSRC2:TGID_Z_EN: 0
; COMPUTE_PGM_RSRC2:TIDIG_COMP_CNT: 0
; COMPUTE_PGM_RSRC3_GFX90A:ACCUM_OFFSET: 4
; COMPUTE_PGM_RSRC3_GFX90A:TG_SPLIT: 0
	.section	.text._Z28addBiasResidualPostLayerNormIfLi2ELi32EEvPT_PKS0_S3_S3_S3_fi,"axG",@progbits,_Z28addBiasResidualPostLayerNormIfLi2ELi32EEvPT_PKS0_S3_S3_S3_fi,comdat
	.protected	_Z28addBiasResidualPostLayerNormIfLi2ELi32EEvPT_PKS0_S3_S3_S3_fi ; -- Begin function _Z28addBiasResidualPostLayerNormIfLi2ELi32EEvPT_PKS0_S3_S3_S3_fi
	.globl	_Z28addBiasResidualPostLayerNormIfLi2ELi32EEvPT_PKS0_S3_S3_S3_fi
	.p2align	8
	.type	_Z28addBiasResidualPostLayerNormIfLi2ELi32EEvPT_PKS0_S3_S3_S3_fi,@function
_Z28addBiasResidualPostLayerNormIfLi2ELi32EEvPT_PKS0_S3_S3_S3_fi: ; @_Z28addBiasResidualPostLayerNormIfLi2ELi32EEvPT_PKS0_S3_S3_S3_fi
; %bb.0:
	s_load_dwordx2 s[14:15], s[0:1], 0x28
	s_load_dwordx2 s[12:13], s[0:1], 0x0
	v_mov_b32_e32 v7, 0
	v_lshlrev_b32_e32 v4, 2, v0
	v_mov_b32_e32 v6, 0
	s_waitcnt lgkmcnt(0)
	s_mul_i32 s16, s15, s2
	v_cmp_gt_i32_e64 s[10:11], s15, v0
	v_add_u32_e32 v2, s16, v0
	v_mov_b32_e32 v3, v7
	s_and_saveexec_b64 s[2:3], s[10:11]
	s_cbranch_execz .LBB6_4
; %bb.1:
	s_load_dwordx4 s[4:7], s[0:1], 0x8
	s_load_dword s8, s[0:1], 0x3c
	v_mov_b32_e32 v3, 0
	v_lshlrev_b64 v[6:7], 2, v[2:3]
	v_lshl_add_u64 v[8:9], s[12:13], 0, v[6:7]
	global_load_dword v5, v[8:9], off
	s_waitcnt lgkmcnt(0)
	v_lshl_add_u64 v[6:7], s[4:5], 0, v[6:7]
	global_load_dword v8, v[6:7], off
	global_load_dword v9, v4, s[6:7]
	s_and_b32 s17, s8, 0xffff
	v_add_u32_e32 v1, s17, v0
	v_cmp_gt_u32_e32 vcc, s15, v1
	s_waitcnt vmcnt(1)
	v_add_f32_e32 v5, v5, v8
	s_waitcnt vmcnt(0)
	v_add_f32_e32 v6, v5, v9
	v_add_f32_e32 v7, 0, v6
	s_and_saveexec_b64 s[8:9], vcc
	s_cbranch_execz .LBB6_3
; %bb.2:
	v_add_u32_e32 v10, s16, v1
	v_mov_b32_e32 v11, v3
	v_mov_b32_e32 v5, v3
	v_lshlrev_b64 v[10:11], 2, v[10:11]
	v_lshl_add_u64 v[8:9], s[6:7], 0, v[4:5]
	s_mov_b32 s7, 0
	v_lshl_add_u64 v[12:13], s[12:13], 0, v[10:11]
	v_lshl_add_u64 v[10:11], s[4:5], 0, v[10:11]
	s_lshl_b32 s6, s17, 2
	global_load_dword v1, v[12:13], off
	global_load_dword v3, v[10:11], off
	v_lshl_add_u64 v[8:9], v[8:9], 0, s[6:7]
	global_load_dword v5, v[8:9], off
	s_waitcnt vmcnt(1)
	v_add_f32_e32 v1, v1, v3
	s_waitcnt vmcnt(0)
	v_add_f32_e32 v3, v1, v5
	v_add_f32_e32 v7, v7, v3
.LBB6_3:
	s_or_b64 exec, exec, s[8:9]
.LBB6_4:
	s_or_b64 exec, exec, s[2:3]
	v_mbcnt_lo_u32_b32 v1, -1, 0
	v_mbcnt_hi_u32_b32 v11, -1, v1
	v_and_b32_e32 v1, 0x60, v11
	v_add_u32_e32 v12, 32, v1
	v_xor_b32_e32 v1, 16, v11
	v_cmp_lt_i32_e32 vcc, v1, v12
	v_xor_b32_e32 v8, 8, v11
	v_xor_b32_e32 v9, 4, v11
	v_cndmask_b32_e32 v1, v11, v1, vcc
	v_lshlrev_b32_e32 v1, 2, v1
	ds_bpermute_b32 v5, v1, v7
	v_cmp_lt_i32_e32 vcc, v8, v12
	v_xor_b32_e32 v10, 2, v11
	v_xor_b32_e32 v13, 1, v11
	s_waitcnt lgkmcnt(0)
	v_add_f32_e32 v7, v7, v5
	v_cndmask_b32_e32 v5, v11, v8, vcc
	v_lshlrev_b32_e32 v5, 2, v5
	ds_bpermute_b32 v8, v5, v7
	v_cmp_lt_i32_e32 vcc, v9, v12
	s_waitcnt lgkmcnt(0)
	v_add_f32_e32 v7, v7, v8
	v_cndmask_b32_e32 v8, v11, v9, vcc
	v_lshlrev_b32_e32 v8, 2, v8
	ds_bpermute_b32 v9, v8, v7
	v_cmp_lt_i32_e32 vcc, v10, v12
	;; [unrolled: 6-line block ×3, first 2 shown]
	s_waitcnt lgkmcnt(0)
	v_add_f32_e32 v10, v7, v10
	v_cndmask_b32_e32 v7, v11, v13, vcc
	v_lshlrev_b32_e32 v11, 2, v7
	ds_bpermute_b32 v12, v11, v10
	v_and_b32_e32 v7, 31, v0
	v_cmp_eq_u32_e64 s[4:5], 0, v7
	v_lshrrev_b32_e32 v13, 3, v0
	s_and_saveexec_b64 s[2:3], s[4:5]
	s_cbranch_execz .LBB6_6
; %bb.5:
	s_waitcnt lgkmcnt(0)
	v_add_f32_e32 v10, v10, v12
	ds_write_b32 v13, v10
.LBB6_6:
	s_or_b64 exec, exec, s[2:3]
	s_waitcnt lgkmcnt(0)
	s_barrier
	s_load_dword s17, s[0:1], 0x3c
	v_mov_b32_e32 v10, 0
	v_lshlrev_b32_e32 v14, 2, v7
	s_waitcnt lgkmcnt(0)
	s_bfe_u32 s2, s17, 0xb0005
	v_cmp_gt_u32_e64 s[6:7], s2, v0
	s_and_saveexec_b64 s[2:3], s[6:7]
; %bb.7:
	ds_read_b32 v10, v14
; %bb.8:
	s_or_b64 exec, exec, s[2:3]
	s_waitcnt lgkmcnt(0)
	ds_bpermute_b32 v7, v1, v10
	v_cvt_f32_i32_e32 v12, s15
	v_cmp_eq_u32_e64 s[8:9], 0, v0
	s_waitcnt lgkmcnt(0)
	v_add_f32_e32 v7, v10, v7
	ds_bpermute_b32 v10, v5, v7
	s_waitcnt lgkmcnt(0)
	v_add_f32_e32 v7, v7, v10
	ds_bpermute_b32 v10, v8, v7
	;; [unrolled: 3-line block ×4, first 2 shown]
	s_and_saveexec_b64 s[2:3], s[8:9]
	s_cbranch_execz .LBB6_10
; %bb.9:
	s_waitcnt lgkmcnt(0)
	v_add_f32_e32 v7, v7, v10
	v_div_scale_f32 v10, s[18:19], v12, v12, v7
	v_rcp_f32_e32 v15, v10
	v_div_scale_f32 v16, vcc, v7, v12, v7
	v_fma_f32 v17, -v10, v15, 1.0
	v_fmac_f32_e32 v15, v17, v15
	v_mul_f32_e32 v17, v16, v15
	v_fma_f32 v18, -v10, v17, v16
	v_fmac_f32_e32 v17, v18, v15
	v_fma_f32 v10, -v10, v17, v16
	v_div_fmas_f32 v10, v10, v15, v17
	v_div_fixup_f32 v7, v10, v12, v7
	v_mov_b32_e32 v10, 0
	ds_write_b32 v10, v7 offset:132
.LBB6_10:
	s_or_b64 exec, exec, s[2:3]
	s_and_b32 s17, 0xffff, s17
	v_mov_b32_e32 v7, 0
	s_waitcnt lgkmcnt(0)
	v_add_u32_e32 v10, s17, v0
	s_barrier
	s_and_saveexec_b64 s[2:3], s[10:11]
	s_cbranch_execz .LBB6_12
; %bb.11:
	v_mov_b32_e32 v0, 0
	ds_read_b32 v0, v0 offset:132
	v_mov_b32_e32 v7, v3
	v_cmp_gt_u32_e32 vcc, s15, v10
	s_waitcnt lgkmcnt(0)
	v_pk_add_f32 v[16:17], v[6:7], v[0:1] op_sel_hi:[1,0] neg_lo:[0,1] neg_hi:[0,1]
	s_nop 0
	v_pk_mul_f32 v[16:17], v[16:17], v[16:17]
	s_nop 0
	v_add_f32_e32 v0, v16, v17
	v_cndmask_b32_e32 v7, v16, v0, vcc
.LBB6_12:
	s_or_b64 exec, exec, s[2:3]
	ds_bpermute_b32 v0, v1, v7
	s_waitcnt lgkmcnt(0)
	v_add_f32_e32 v0, v7, v0
	ds_bpermute_b32 v7, v5, v0
	s_waitcnt lgkmcnt(0)
	v_add_f32_e32 v0, v0, v7
	;; [unrolled: 3-line block ×4, first 2 shown]
	ds_bpermute_b32 v7, v11, v0
	s_and_saveexec_b64 s[2:3], s[4:5]
	s_cbranch_execz .LBB6_14
; %bb.13:
	s_waitcnt lgkmcnt(0)
	v_add_f32_e32 v0, v0, v7
	ds_write_b32 v13, v0
.LBB6_14:
	s_or_b64 exec, exec, s[2:3]
	v_mov_b32_e32 v0, 0
	s_waitcnt lgkmcnt(0)
	s_barrier
	s_and_saveexec_b64 s[2:3], s[6:7]
; %bb.15:
	ds_read_b32 v0, v14
; %bb.16:
	s_or_b64 exec, exec, s[2:3]
	s_waitcnt lgkmcnt(0)
	ds_bpermute_b32 v1, v1, v0
	s_waitcnt lgkmcnt(0)
	v_add_f32_e32 v0, v0, v1
	ds_bpermute_b32 v1, v5, v0
	s_waitcnt lgkmcnt(0)
	v_add_f32_e32 v0, v0, v1
	;; [unrolled: 3-line block ×4, first 2 shown]
	ds_bpermute_b32 v1, v11, v0
	s_and_saveexec_b64 s[2:3], s[8:9]
	s_cbranch_execz .LBB6_18
; %bb.17:
	s_waitcnt lgkmcnt(0)
	v_add_f32_e32 v0, v0, v1
	v_div_scale_f32 v1, s[4:5], v12, v12, v0
	v_rcp_f32_e32 v5, v1
	v_div_scale_f32 v7, vcc, v0, v12, v0
	v_fma_f32 v8, -v1, v5, 1.0
	v_fmac_f32_e32 v5, v8, v5
	v_mul_f32_e32 v8, v7, v5
	v_fma_f32 v9, -v1, v8, v7
	v_fmac_f32_e32 v8, v9, v5
	v_fma_f32 v1, -v1, v8, v7
	v_div_fmas_f32 v1, v1, v5, v8
	v_div_fixup_f32 v0, v1, v12, v0
	v_add_f32_e32 v0, s14, v0
	v_mov_b32_e32 v1, 0
	ds_write_b32 v1, v0 offset:128
.LBB6_18:
	s_or_b64 exec, exec, s[2:3]
	s_waitcnt lgkmcnt(0)
	s_barrier
	s_and_saveexec_b64 s[2:3], s[10:11]
	s_cbranch_execz .LBB6_21
; %bb.19:
	s_load_dwordx4 s[4:7], s[0:1], 0x18
	v_mov_b32_e32 v1, 0
	s_mov_b32 s0, 0x800000
	s_waitcnt lgkmcnt(0)
	global_load_dword v5, v4, s[4:5]
	global_load_dword v7, v4, s[6:7]
	ds_read_b64 v[8:9], v1 offset:128
	s_waitcnt lgkmcnt(0)
	v_mul_f32_e32 v0, 0x4b800000, v8
	v_cmp_gt_f32_e32 vcc, s0, v8
	s_nop 1
	v_cndmask_b32_e32 v0, v8, v0, vcc
	v_rsq_f32_e32 v8, v0
	v_mov_b32_e32 v0, v2
	v_lshl_add_u64 v[12:13], v[0:1], 2, s[12:13]
	v_sub_f32_e32 v0, v6, v9
	v_mul_f32_e32 v2, 0x45800000, v8
	v_cndmask_b32_e32 v2, v8, v2, vcc
	v_mul_f32_e32 v0, v0, v2
	v_cmp_gt_u32_e32 vcc, s15, v10
	s_waitcnt vmcnt(0)
	v_fmac_f32_e32 v7, v5, v0
	global_store_dword v[12:13], v7, off
	s_and_b64 exec, exec, vcc
	s_cbranch_execz .LBB6_21
; %bb.20:
	v_mov_b32_e32 v5, v1
	v_lshl_add_u64 v[6:7], s[4:5], 0, v[4:5]
	v_lshl_add_u64 v[4:5], s[6:7], 0, v[4:5]
	s_lshl_b32 s0, s17, 2
	s_mov_b32 s1, 0
	v_lshl_add_u64 v[6:7], v[6:7], 0, s[0:1]
	v_lshl_add_u64 v[4:5], v[4:5], 0, s[0:1]
	global_load_dword v6, v[6:7], off
	v_sub_f32_e32 v3, v3, v9
	global_load_dword v4, v[4:5], off
	v_add_u32_e32 v0, s16, v10
	v_mul_f32_e32 v2, v3, v2
	v_lshl_add_u64 v[0:1], v[0:1], 2, s[12:13]
	s_waitcnt vmcnt(0)
	v_fmac_f32_e32 v4, v6, v2
	global_store_dword v[0:1], v4, off
.LBB6_21:
	s_endpgm
	.section	.rodata,"a",@progbits
	.p2align	6, 0x0
	.amdhsa_kernel _Z28addBiasResidualPostLayerNormIfLi2ELi32EEvPT_PKS0_S3_S3_S3_fi
		.amdhsa_group_segment_fixed_size 136
		.amdhsa_private_segment_fixed_size 0
		.amdhsa_kernarg_size 304
		.amdhsa_user_sgpr_count 2
		.amdhsa_user_sgpr_dispatch_ptr 0
		.amdhsa_user_sgpr_queue_ptr 0
		.amdhsa_user_sgpr_kernarg_segment_ptr 1
		.amdhsa_user_sgpr_dispatch_id 0
		.amdhsa_user_sgpr_kernarg_preload_length 0
		.amdhsa_user_sgpr_kernarg_preload_offset 0
		.amdhsa_user_sgpr_private_segment_size 0
		.amdhsa_uses_dynamic_stack 0
		.amdhsa_enable_private_segment 0
		.amdhsa_system_sgpr_workgroup_id_x 1
		.amdhsa_system_sgpr_workgroup_id_y 0
		.amdhsa_system_sgpr_workgroup_id_z 0
		.amdhsa_system_sgpr_workgroup_info 0
		.amdhsa_system_vgpr_workitem_id 0
		.amdhsa_next_free_vgpr 19
		.amdhsa_next_free_sgpr 20
		.amdhsa_accum_offset 20
		.amdhsa_reserve_vcc 1
		.amdhsa_float_round_mode_32 0
		.amdhsa_float_round_mode_16_64 0
		.amdhsa_float_denorm_mode_32 3
		.amdhsa_float_denorm_mode_16_64 3
		.amdhsa_dx10_clamp 1
		.amdhsa_ieee_mode 1
		.amdhsa_fp16_overflow 0
		.amdhsa_tg_split 0
		.amdhsa_exception_fp_ieee_invalid_op 0
		.amdhsa_exception_fp_denorm_src 0
		.amdhsa_exception_fp_ieee_div_zero 0
		.amdhsa_exception_fp_ieee_overflow 0
		.amdhsa_exception_fp_ieee_underflow 0
		.amdhsa_exception_fp_ieee_inexact 0
		.amdhsa_exception_int_div_zero 0
	.end_amdhsa_kernel
	.section	.text._Z28addBiasResidualPostLayerNormIfLi2ELi32EEvPT_PKS0_S3_S3_S3_fi,"axG",@progbits,_Z28addBiasResidualPostLayerNormIfLi2ELi32EEvPT_PKS0_S3_S3_S3_fi,comdat
.Lfunc_end6:
	.size	_Z28addBiasResidualPostLayerNormIfLi2ELi32EEvPT_PKS0_S3_S3_S3_fi, .Lfunc_end6-_Z28addBiasResidualPostLayerNormIfLi2ELi32EEvPT_PKS0_S3_S3_S3_fi
                                        ; -- End function
	.set _Z28addBiasResidualPostLayerNormIfLi2ELi32EEvPT_PKS0_S3_S3_S3_fi.num_vgpr, 19
	.set _Z28addBiasResidualPostLayerNormIfLi2ELi32EEvPT_PKS0_S3_S3_S3_fi.num_agpr, 0
	.set _Z28addBiasResidualPostLayerNormIfLi2ELi32EEvPT_PKS0_S3_S3_S3_fi.numbered_sgpr, 20
	.set _Z28addBiasResidualPostLayerNormIfLi2ELi32EEvPT_PKS0_S3_S3_S3_fi.num_named_barrier, 0
	.set _Z28addBiasResidualPostLayerNormIfLi2ELi32EEvPT_PKS0_S3_S3_S3_fi.private_seg_size, 0
	.set _Z28addBiasResidualPostLayerNormIfLi2ELi32EEvPT_PKS0_S3_S3_S3_fi.uses_vcc, 1
	.set _Z28addBiasResidualPostLayerNormIfLi2ELi32EEvPT_PKS0_S3_S3_S3_fi.uses_flat_scratch, 0
	.set _Z28addBiasResidualPostLayerNormIfLi2ELi32EEvPT_PKS0_S3_S3_S3_fi.has_dyn_sized_stack, 0
	.set _Z28addBiasResidualPostLayerNormIfLi2ELi32EEvPT_PKS0_S3_S3_S3_fi.has_recursion, 0
	.set _Z28addBiasResidualPostLayerNormIfLi2ELi32EEvPT_PKS0_S3_S3_S3_fi.has_indirect_call, 0
	.section	.AMDGPU.csdata,"",@progbits
; Kernel info:
; codeLenInByte = 1420
; TotalNumSgprs: 26
; NumVgprs: 19
; NumAgprs: 0
; TotalNumVgprs: 19
; ScratchSize: 0
; MemoryBound: 0
; FloatMode: 240
; IeeeMode: 1
; LDSByteSize: 136 bytes/workgroup (compile time only)
; SGPRBlocks: 3
; VGPRBlocks: 2
; NumSGPRsForWavesPerEU: 26
; NumVGPRsForWavesPerEU: 19
; AccumOffset: 20
; Occupancy: 8
; WaveLimiterHint : 0
; COMPUTE_PGM_RSRC2:SCRATCH_EN: 0
; COMPUTE_PGM_RSRC2:USER_SGPR: 2
; COMPUTE_PGM_RSRC2:TRAP_HANDLER: 0
; COMPUTE_PGM_RSRC2:TGID_X_EN: 1
; COMPUTE_PGM_RSRC2:TGID_Y_EN: 0
; COMPUTE_PGM_RSRC2:TGID_Z_EN: 0
; COMPUTE_PGM_RSRC2:TIDIG_COMP_CNT: 0
; COMPUTE_PGM_RSRC3_GFX90A:ACCUM_OFFSET: 4
; COMPUTE_PGM_RSRC3_GFX90A:TG_SPLIT: 0
	.section	.text._Z35generalAddBiasResidualPostLayerNormIfLi32EEvPT_PKS0_S3_S3_S3_fi,"axG",@progbits,_Z35generalAddBiasResidualPostLayerNormIfLi32EEvPT_PKS0_S3_S3_S3_fi,comdat
	.protected	_Z35generalAddBiasResidualPostLayerNormIfLi32EEvPT_PKS0_S3_S3_S3_fi ; -- Begin function _Z35generalAddBiasResidualPostLayerNormIfLi32EEvPT_PKS0_S3_S3_S3_fi
	.globl	_Z35generalAddBiasResidualPostLayerNormIfLi32EEvPT_PKS0_S3_S3_S3_fi
	.p2align	8
	.type	_Z35generalAddBiasResidualPostLayerNormIfLi32EEvPT_PKS0_S3_S3_S3_fi,@function
_Z35generalAddBiasResidualPostLayerNormIfLi32EEvPT_PKS0_S3_S3_S3_fi: ; @_Z35generalAddBiasResidualPostLayerNormIfLi32EEvPT_PKS0_S3_S3_S3_fi
; %bb.0:
	s_load_dwordx2 s[16:17], s[0:1], 0x28
	s_load_dwordx2 s[10:11], s[0:1], 0x0
	v_mov_b32_e32 v3, 0
	s_waitcnt lgkmcnt(0)
	s_lshr_b32 s3, s17, 31
	s_add_i32 s3, s17, s3
	s_ashr_i32 s20, s3, 1
	v_cmp_gt_i32_e64 s[8:9], s20, v0
	s_mul_i32 s21, s17, s2
	s_and_saveexec_b64 s[2:3], s[8:9]
	s_cbranch_execz .LBB7_4
; %bb.1:
	s_load_dword s12, s[0:1], 0x3c
	s_load_dwordx4 s[4:7], s[0:1], 0x8
	v_lshlrev_b32_e32 v2, 3, v0
	v_mov_b32_e32 v3, 0
	s_lshr_b32 s14, s21, 1
	s_waitcnt lgkmcnt(0)
	s_and_b32 s15, s12, 0xffff
	s_mov_b32 s13, 0
	v_lshl_add_u64 v[4:5], s[6:7], 0, v[2:3]
	s_lshl_b32 s12, s15, 3
	s_mov_b64 s[6:7], 0
	v_mov_b32_e32 v1, v0
.LBB7_2:                                ; =>This Inner Loop Header: Depth=1
	v_add_u32_e32 v6, s14, v1
	v_ashrrev_i32_e32 v7, 31, v6
	v_lshlrev_b64 v[6:7], 3, v[6:7]
	v_lshl_add_u64 v[8:9], s[10:11], 0, v[6:7]
	v_lshl_add_u64 v[6:7], s[4:5], 0, v[6:7]
	global_load_dwordx2 v[10:11], v[8:9], off
	global_load_dwordx2 v[12:13], v[6:7], off
	;; [unrolled: 1-line block ×3, first 2 shown]
	v_add_u32_e32 v1, s15, v1
	v_cmp_le_i32_e32 vcc, s20, v1
	v_lshl_add_u64 v[4:5], v[4:5], 0, s[12:13]
	s_or_b64 s[6:7], vcc, s[6:7]
	s_waitcnt vmcnt(1)
	v_pk_add_f32 v[6:7], v[10:11], v[12:13]
	s_waitcnt vmcnt(0)
	v_pk_add_f32 v[6:7], v[6:7], v[14:15]
	global_store_dwordx2 v[8:9], v[6:7], off
	v_add_f32_e32 v2, v3, v6
	v_add_f32_e32 v3, v2, v7
	s_andn2_b64 exec, exec, s[6:7]
	s_cbranch_execnz .LBB7_2
; %bb.3:
	s_or_b64 exec, exec, s[6:7]
.LBB7_4:
	s_or_b64 exec, exec, s[2:3]
	v_mbcnt_lo_u32_b32 v1, -1, 0
	v_mbcnt_hi_u32_b32 v2, -1, v1
	v_and_b32_e32 v1, 0x60, v2
	v_add_u32_e32 v7, 32, v1
	v_xor_b32_e32 v1, 16, v2
	v_cmp_lt_i32_e32 vcc, v1, v7
	v_xor_b32_e32 v5, 8, v2
	v_xor_b32_e32 v6, 4, v2
	v_cndmask_b32_e32 v1, v2, v1, vcc
	v_lshlrev_b32_e32 v1, 2, v1
	ds_bpermute_b32 v4, v1, v3
	v_cmp_lt_i32_e32 vcc, v5, v7
	v_xor_b32_e32 v8, 2, v2
	v_xor_b32_e32 v9, 1, v2
	s_load_dwordx4 s[12:15], s[0:1], 0x18
	s_waitcnt lgkmcnt(0)
	v_add_f32_e32 v3, v3, v4
	v_cndmask_b32_e32 v4, v2, v5, vcc
	v_lshlrev_b32_e32 v4, 2, v4
	ds_bpermute_b32 v5, v4, v3
	v_cmp_lt_i32_e32 vcc, v6, v7
	s_waitcnt lgkmcnt(0)
	v_add_f32_e32 v3, v3, v5
	v_cndmask_b32_e32 v5, v2, v6, vcc
	v_lshlrev_b32_e32 v5, 2, v5
	ds_bpermute_b32 v6, v5, v3
	v_cmp_lt_i32_e32 vcc, v8, v7
	;; [unrolled: 6-line block ×3, first 2 shown]
	s_waitcnt lgkmcnt(0)
	v_add_f32_e32 v3, v3, v8
	v_cndmask_b32_e32 v2, v2, v9, vcc
	v_lshlrev_b32_e32 v7, 2, v2
	ds_bpermute_b32 v8, v7, v3
	v_and_b32_e32 v2, 31, v0
	v_cmp_eq_u32_e64 s[4:5], 0, v2
	v_lshrrev_b32_e32 v9, 3, v0
	s_and_saveexec_b64 s[2:3], s[4:5]
	s_cbranch_execz .LBB7_6
; %bb.5:
	s_waitcnt lgkmcnt(0)
	v_add_f32_e32 v3, v3, v8
	ds_write_b32 v9, v3
.LBB7_6:
	s_or_b64 exec, exec, s[2:3]
	s_waitcnt lgkmcnt(0)
	s_barrier
	s_load_dword s18, s[0:1], 0x3c
	v_mov_b32_e32 v3, 0
	v_lshlrev_b32_e32 v10, 2, v2
	s_waitcnt lgkmcnt(0)
	s_bfe_u32 s0, s18, 0xb0005
	v_cmp_gt_u32_e64 s[0:1], s0, v0
	s_and_saveexec_b64 s[2:3], s[0:1]
; %bb.7:
	ds_read_b32 v3, v10
; %bb.8:
	s_or_b64 exec, exec, s[2:3]
	s_waitcnt lgkmcnt(0)
	ds_bpermute_b32 v2, v1, v3
	v_cvt_f32_i32_e32 v8, s17
	v_cmp_eq_u32_e64 s[6:7], 0, v0
	s_waitcnt lgkmcnt(0)
	v_add_f32_e32 v2, v3, v2
	ds_bpermute_b32 v3, v4, v2
	s_waitcnt lgkmcnt(0)
	v_add_f32_e32 v2, v2, v3
	ds_bpermute_b32 v3, v5, v2
	;; [unrolled: 3-line block ×4, first 2 shown]
	s_and_saveexec_b64 s[2:3], s[6:7]
	s_cbranch_execz .LBB7_10
; %bb.9:
	s_waitcnt lgkmcnt(0)
	v_add_f32_e32 v2, v2, v3
	v_div_scale_f32 v3, s[22:23], v8, v8, v2
	v_rcp_f32_e32 v11, v3
	v_div_scale_f32 v12, vcc, v2, v8, v2
	v_fma_f32 v13, -v3, v11, 1.0
	v_fmac_f32_e32 v11, v13, v11
	v_mul_f32_e32 v13, v12, v11
	v_fma_f32 v14, -v3, v13, v12
	v_fmac_f32_e32 v13, v14, v11
	v_fma_f32 v3, -v3, v13, v12
	v_div_fmas_f32 v3, v3, v11, v13
	v_div_fixup_f32 v2, v3, v8, v2
	v_mov_b32_e32 v3, 0
	ds_write_b32 v3, v2 offset:132
.LBB7_10:
	s_or_b64 exec, exec, s[2:3]
	s_and_b32 s17, 0xffff, s18
	v_mov_b32_e32 v11, 0
	s_waitcnt lgkmcnt(0)
	s_barrier
	s_and_saveexec_b64 s[2:3], s[8:9]
	s_cbranch_execz .LBB7_14
; %bb.11:
	v_mov_b32_e32 v11, 0
	ds_read_b32 v2, v11 offset:132
	s_lshr_b32 s22, s21, 1
	s_mov_b64 s[18:19], 0
	v_mov_b32_e32 v12, v0
	s_waitcnt lgkmcnt(0)
	v_mov_b32_e32 v3, v2
.LBB7_12:                               ; =>This Inner Loop Header: Depth=1
	v_add_u32_e32 v14, s22, v12
	v_ashrrev_i32_e32 v15, 31, v14
	v_lshl_add_u64 v[14:15], v[14:15], 3, s[10:11]
	global_load_dwordx2 v[14:15], v[14:15], off
	v_add_u32_e32 v12, s17, v12
	v_cmp_le_i32_e32 vcc, s20, v12
	s_or_b64 s[18:19], vcc, s[18:19]
	s_waitcnt vmcnt(0)
	v_pk_add_f32 v[14:15], v[14:15], v[2:3] neg_lo:[0,1] neg_hi:[0,1]
	s_nop 0
	v_pk_mul_f32 v[14:15], v[14:15], v[14:15]
	s_nop 0
	v_add_f32_e32 v11, v11, v14
	v_add_f32_e32 v11, v15, v11
	s_andn2_b64 exec, exec, s[18:19]
	s_cbranch_execnz .LBB7_12
; %bb.13:
	s_or_b64 exec, exec, s[18:19]
.LBB7_14:
	s_or_b64 exec, exec, s[2:3]
	ds_bpermute_b32 v2, v1, v11
	s_waitcnt lgkmcnt(0)
	v_add_f32_e32 v2, v11, v2
	ds_bpermute_b32 v3, v4, v2
	s_waitcnt lgkmcnt(0)
	v_add_f32_e32 v2, v2, v3
	;; [unrolled: 3-line block ×4, first 2 shown]
	ds_bpermute_b32 v3, v7, v2
	s_and_saveexec_b64 s[2:3], s[4:5]
	s_cbranch_execz .LBB7_16
; %bb.15:
	s_waitcnt lgkmcnt(0)
	v_add_f32_e32 v2, v2, v3
	ds_write_b32 v9, v2
.LBB7_16:
	s_or_b64 exec, exec, s[2:3]
	v_mov_b32_e32 v2, 0
	s_waitcnt lgkmcnt(0)
	s_barrier
	s_and_saveexec_b64 s[2:3], s[0:1]
; %bb.17:
	ds_read_b32 v2, v10
; %bb.18:
	s_or_b64 exec, exec, s[2:3]
	s_waitcnt lgkmcnt(0)
	ds_bpermute_b32 v1, v1, v2
	s_waitcnt lgkmcnt(0)
	v_add_f32_e32 v1, v2, v1
	ds_bpermute_b32 v2, v4, v1
	s_waitcnt lgkmcnt(0)
	v_add_f32_e32 v1, v1, v2
	ds_bpermute_b32 v2, v5, v1
	s_waitcnt lgkmcnt(0)
	v_add_f32_e32 v1, v1, v2
	ds_bpermute_b32 v2, v6, v1
	s_waitcnt lgkmcnt(0)
	v_add_f32_e32 v1, v1, v2
	ds_bpermute_b32 v2, v7, v1
	s_and_saveexec_b64 s[0:1], s[6:7]
	s_cbranch_execz .LBB7_20
; %bb.19:
	s_waitcnt lgkmcnt(0)
	v_add_f32_e32 v1, v1, v2
	v_div_scale_f32 v2, s[2:3], v8, v8, v1
	v_rcp_f32_e32 v3, v2
	v_div_scale_f32 v4, vcc, v1, v8, v1
	s_mov_b32 s2, 0x800000
	v_fma_f32 v5, -v2, v3, 1.0
	v_fmac_f32_e32 v3, v5, v3
	v_mul_f32_e32 v5, v4, v3
	v_fma_f32 v6, -v2, v5, v4
	v_fmac_f32_e32 v5, v6, v3
	v_fma_f32 v2, -v2, v5, v4
	v_div_fmas_f32 v2, v2, v3, v5
	v_div_fixup_f32 v1, v2, v8, v1
	v_add_f32_e32 v1, s16, v1
	v_mul_f32_e32 v2, 0x4b800000, v1
	v_cmp_gt_f32_e32 vcc, s2, v1
	s_nop 1
	v_cndmask_b32_e32 v1, v1, v2, vcc
	v_rsq_f32_e32 v1, v1
	s_nop 0
	v_mul_f32_e32 v2, 0x45800000, v1
	v_cndmask_b32_e32 v1, v1, v2, vcc
	v_mov_b32_e32 v2, 0
	ds_write_b32 v2, v1 offset:128
.LBB7_20:
	s_or_b64 exec, exec, s[0:1]
	s_waitcnt lgkmcnt(0)
	s_barrier
	s_and_saveexec_b64 s[0:1], s[8:9]
	s_cbranch_execz .LBB7_30
; %bb.21:
	v_mov_b32_e32 v1, 0
	ds_read_b64 v[2:3], v1 offset:128
	v_add_u32_e32 v1, 1, v0
	v_max_i32_e32 v4, s20, v1
	v_sub_u32_e32 v12, v4, v0
	s_lshr_b32 s8, s21, 1
	v_cmp_gt_u32_e64 s[2:3], 6, v12
	v_cmp_lt_u32_e32 vcc, 5, v12
	s_and_saveexec_b64 s[4:5], vcc
	s_cbranch_execz .LBB7_27
; %bb.22:
	v_cvt_f32_u32_e32 v4, s17
	v_add_u32_e32 v5, s17, v0
	v_mov_b32_e32 v6, s17
	v_cmp_gt_i32_e32 vcc, s20, v5
	v_rcp_iflag_f32_e32 v4, v4
	s_cmp_eq_u32 s17, 1
	v_max_i32_e32 v7, s20, v5
	v_addc_co_u32_e64 v5, s[0:1], v0, v6, vcc
	v_mul_f32_e32 v4, 0x4f7ffffe, v4
	v_cvt_u32_f32_e32 v4, v4
	s_cselect_b64 s[6:7], -1, 0
	s_sub_i32 s0, 0, s17
	v_sub_u32_e32 v5, v7, v5
	v_mul_lo_u32 v6, s0, v4
	v_mul_hi_u32 v6, v4, v6
	v_add_u32_e32 v4, v4, v6
	v_mul_hi_u32 v4, v5, v4
	v_mul_lo_u32 v6, v4, s17
	v_sub_u32_e32 v5, v5, v6
	v_add_u32_e32 v6, 1, v4
	v_cmp_le_u32_e64 s[0:1], s17, v5
	s_nop 1
	v_cndmask_b32_e64 v4, v4, v6, s[0:1]
	v_subrev_u32_e32 v6, s17, v5
	v_cndmask_b32_e64 v5, v5, v6, s[0:1]
	v_add_u32_e32 v6, 1, v4
	v_cmp_le_u32_e64 s[0:1], s17, v5
	v_add_u32_e32 v5, s8, v0
	s_nop 0
	v_cndmask_b32_e64 v4, v4, v6, s[0:1]
	v_addc_co_u32_e32 v4, vcc, v5, v4, vcc
	v_cmp_ge_i32_e32 vcc, v4, v5
	s_and_b64 s[18:19], s[6:7], vcc
	s_mov_b64 s[6:7], -1
	s_and_saveexec_b64 s[0:1], s[18:19]
	s_cbranch_execz .LBB7_26
; %bb.23:
	v_and_b32_e32 v13, -2, v12
	s_mov_b32 s9, s8
	s_waitcnt lgkmcnt(0)
	v_mov_b32_e32 v4, v3
	v_mov_b32_e32 v5, v3
	;; [unrolled: 1-line block ×4, first 2 shown]
	s_mov_b64 s[6:7], 0
	v_mov_b32_e32 v9, 0
	v_mov_b32_e32 v14, v13
	v_mov_b64_e32 v[10:11], v[0:1]
.LBB7_24:                               ; =>This Inner Loop Header: Depth=1
	v_add_u32_e32 v16, s8, v10
	v_add_u32_e32 v18, s9, v11
	v_ashrrev_i32_e32 v17, 31, v16
	v_mov_b32_e32 v8, v10
	v_ashrrev_i32_e32 v19, 31, v18
	v_lshl_add_u64 v[16:17], v[16:17], 3, s[10:11]
	v_lshlrev_b64 v[20:21], 3, v[8:9]
	v_mov_b32_e32 v8, v11
	v_lshl_add_u64 v[18:19], v[18:19], 3, s[10:11]
	global_load_dwordx2 v[26:27], v[16:17], off
	global_load_dwordx2 v[28:29], v[18:19], off
	v_lshl_add_u64 v[22:23], s[12:13], 0, v[20:21]
	v_lshlrev_b64 v[24:25], 3, v[8:9]
	v_lshl_add_u64 v[20:21], s[14:15], 0, v[20:21]
	v_lshl_add_u64 v[30:31], s[12:13], 0, v[24:25]
	global_load_dwordx2 v[22:23], v[22:23], off
	v_lshl_add_u64 v[24:25], s[14:15], 0, v[24:25]
	global_load_dwordx2 v[32:33], v[20:21], off
	global_load_dwordx2 v[34:35], v[30:31], off
	;; [unrolled: 1-line block ×3, first 2 shown]
	v_add_u32_e32 v14, -2, v14
	v_cmp_eq_u32_e32 vcc, 0, v14
	v_add_u32_e32 v10, 2, v10
	v_add_u32_e32 v11, 2, v11
	s_or_b64 s[6:7], vcc, s[6:7]
	s_waitcnt vmcnt(5)
	v_mov_b32_e32 v20, v26
	s_waitcnt vmcnt(4)
	v_mov_b32_e32 v21, v28
	v_mov_b32_e32 v28, v27
	v_pk_add_f32 v[20:21], v[20:21], v[4:5] neg_lo:[0,1] neg_hi:[0,1]
	v_pk_add_f32 v[26:27], v[28:29], v[4:5] neg_lo:[0,1] neg_hi:[0,1]
	v_pk_mul_f32 v[20:21], v[20:21], v[6:7]
	s_waitcnt vmcnt(3)
	v_mov_b32_e32 v24, v22
	s_waitcnt vmcnt(2)
	v_mov_b32_e32 v22, v32
	;; [unrolled: 2-line block ×3, first 2 shown]
	v_mov_b32_e32 v34, v23
	s_waitcnt vmcnt(0)
	v_mov_b32_e32 v23, v36
	v_mov_b32_e32 v36, v33
	v_pk_mul_f32 v[26:27], v[26:27], v[6:7]
	v_pk_fma_f32 v[20:21], v[24:25], v[20:21], v[22:23]
	v_pk_fma_f32 v[22:23], v[34:35], v[26:27], v[36:37]
	v_mov_b32_e32 v24, v20
	v_mov_b32_e32 v25, v22
	;; [unrolled: 1-line block ×3, first 2 shown]
	global_store_dwordx2 v[16:17], v[24:25], off
	global_store_dwordx2 v[18:19], v[22:23], off
	s_andn2_b64 exec, exec, s[6:7]
	s_cbranch_execnz .LBB7_24
; %bb.25:
	s_or_b64 exec, exec, s[6:7]
	v_cmp_ne_u32_e32 vcc, v12, v13
	v_add_u32_e32 v0, v0, v13
	s_orn2_b64 s[6:7], vcc, exec
.LBB7_26:
	s_or_b64 exec, exec, s[0:1]
	s_andn2_b64 s[0:1], s[2:3], exec
	s_and_b64 s[2:3], s[6:7], exec
	s_or_b64 s[2:3], s[0:1], s[2:3]
.LBB7_27:
	s_or_b64 exec, exec, s[4:5]
	s_and_b64 exec, exec, s[2:3]
	s_cbranch_execz .LBB7_30
; %bb.28:
	v_mov_b32_e32 v1, 0
	s_waitcnt lgkmcnt(0)
	v_mov_b32_e32 v4, v3
	v_mov_b32_e32 v5, v3
	;; [unrolled: 1-line block ×3, first 2 shown]
	s_mov_b32 s1, 0
	v_lshlrev_b64 v[6:7], 3, v[0:1]
	s_lshl_b32 s0, s17, 3
	s_mov_b64 s[2:3], 0
.LBB7_29:                               ; =>This Inner Loop Header: Depth=1
	v_add_u32_e32 v8, s8, v0
	v_ashrrev_i32_e32 v9, 31, v8
	v_lshl_add_u64 v[8:9], v[8:9], 3, s[10:11]
	v_lshl_add_u64 v[10:11], s[12:13], 0, v[6:7]
	;; [unrolled: 1-line block ×3, first 2 shown]
	global_load_dwordx2 v[14:15], v[8:9], off
	global_load_dwordx2 v[16:17], v[10:11], off
	;; [unrolled: 1-line block ×3, first 2 shown]
	v_add_u32_e32 v0, s17, v0
	v_cmp_le_i32_e32 vcc, s20, v0
	v_lshl_add_u64 v[6:7], v[6:7], 0, s[0:1]
	s_or_b64 s[2:3], vcc, s[2:3]
	s_waitcnt vmcnt(2)
	v_pk_add_f32 v[10:11], v[14:15], v[4:5] neg_lo:[0,1] neg_hi:[0,1]
	s_nop 0
	v_pk_mul_f32 v[10:11], v[10:11], v[2:3]
	s_waitcnt vmcnt(0)
	v_pk_fma_f32 v[10:11], v[16:17], v[10:11], v[18:19]
	global_store_dwordx2 v[8:9], v[10:11], off
	s_andn2_b64 exec, exec, s[2:3]
	s_cbranch_execnz .LBB7_29
.LBB7_30:
	s_endpgm
	.section	.rodata,"a",@progbits
	.p2align	6, 0x0
	.amdhsa_kernel _Z35generalAddBiasResidualPostLayerNormIfLi32EEvPT_PKS0_S3_S3_S3_fi
		.amdhsa_group_segment_fixed_size 136
		.amdhsa_private_segment_fixed_size 0
		.amdhsa_kernarg_size 304
		.amdhsa_user_sgpr_count 2
		.amdhsa_user_sgpr_dispatch_ptr 0
		.amdhsa_user_sgpr_queue_ptr 0
		.amdhsa_user_sgpr_kernarg_segment_ptr 1
		.amdhsa_user_sgpr_dispatch_id 0
		.amdhsa_user_sgpr_kernarg_preload_length 0
		.amdhsa_user_sgpr_kernarg_preload_offset 0
		.amdhsa_user_sgpr_private_segment_size 0
		.amdhsa_uses_dynamic_stack 0
		.amdhsa_enable_private_segment 0
		.amdhsa_system_sgpr_workgroup_id_x 1
		.amdhsa_system_sgpr_workgroup_id_y 0
		.amdhsa_system_sgpr_workgroup_id_z 0
		.amdhsa_system_sgpr_workgroup_info 0
		.amdhsa_system_vgpr_workitem_id 0
		.amdhsa_next_free_vgpr 38
		.amdhsa_next_free_sgpr 24
		.amdhsa_accum_offset 40
		.amdhsa_reserve_vcc 1
		.amdhsa_float_round_mode_32 0
		.amdhsa_float_round_mode_16_64 0
		.amdhsa_float_denorm_mode_32 3
		.amdhsa_float_denorm_mode_16_64 3
		.amdhsa_dx10_clamp 1
		.amdhsa_ieee_mode 1
		.amdhsa_fp16_overflow 0
		.amdhsa_tg_split 0
		.amdhsa_exception_fp_ieee_invalid_op 0
		.amdhsa_exception_fp_denorm_src 0
		.amdhsa_exception_fp_ieee_div_zero 0
		.amdhsa_exception_fp_ieee_overflow 0
		.amdhsa_exception_fp_ieee_underflow 0
		.amdhsa_exception_fp_ieee_inexact 0
		.amdhsa_exception_int_div_zero 0
	.end_amdhsa_kernel
	.section	.text._Z35generalAddBiasResidualPostLayerNormIfLi32EEvPT_PKS0_S3_S3_S3_fi,"axG",@progbits,_Z35generalAddBiasResidualPostLayerNormIfLi32EEvPT_PKS0_S3_S3_S3_fi,comdat
.Lfunc_end7:
	.size	_Z35generalAddBiasResidualPostLayerNormIfLi32EEvPT_PKS0_S3_S3_S3_fi, .Lfunc_end7-_Z35generalAddBiasResidualPostLayerNormIfLi32EEvPT_PKS0_S3_S3_S3_fi
                                        ; -- End function
	.set _Z35generalAddBiasResidualPostLayerNormIfLi32EEvPT_PKS0_S3_S3_S3_fi.num_vgpr, 38
	.set _Z35generalAddBiasResidualPostLayerNormIfLi32EEvPT_PKS0_S3_S3_S3_fi.num_agpr, 0
	.set _Z35generalAddBiasResidualPostLayerNormIfLi32EEvPT_PKS0_S3_S3_S3_fi.numbered_sgpr, 24
	.set _Z35generalAddBiasResidualPostLayerNormIfLi32EEvPT_PKS0_S3_S3_S3_fi.num_named_barrier, 0
	.set _Z35generalAddBiasResidualPostLayerNormIfLi32EEvPT_PKS0_S3_S3_S3_fi.private_seg_size, 0
	.set _Z35generalAddBiasResidualPostLayerNormIfLi32EEvPT_PKS0_S3_S3_S3_fi.uses_vcc, 1
	.set _Z35generalAddBiasResidualPostLayerNormIfLi32EEvPT_PKS0_S3_S3_S3_fi.uses_flat_scratch, 0
	.set _Z35generalAddBiasResidualPostLayerNormIfLi32EEvPT_PKS0_S3_S3_S3_fi.has_dyn_sized_stack, 0
	.set _Z35generalAddBiasResidualPostLayerNormIfLi32EEvPT_PKS0_S3_S3_S3_fi.has_recursion, 0
	.set _Z35generalAddBiasResidualPostLayerNormIfLi32EEvPT_PKS0_S3_S3_S3_fi.has_indirect_call, 0
	.section	.AMDGPU.csdata,"",@progbits
; Kernel info:
; codeLenInByte = 2056
; TotalNumSgprs: 30
; NumVgprs: 38
; NumAgprs: 0
; TotalNumVgprs: 38
; ScratchSize: 0
; MemoryBound: 0
; FloatMode: 240
; IeeeMode: 1
; LDSByteSize: 136 bytes/workgroup (compile time only)
; SGPRBlocks: 3
; VGPRBlocks: 4
; NumSGPRsForWavesPerEU: 30
; NumVGPRsForWavesPerEU: 38
; AccumOffset: 40
; Occupancy: 8
; WaveLimiterHint : 0
; COMPUTE_PGM_RSRC2:SCRATCH_EN: 0
; COMPUTE_PGM_RSRC2:USER_SGPR: 2
; COMPUTE_PGM_RSRC2:TRAP_HANDLER: 0
; COMPUTE_PGM_RSRC2:TGID_X_EN: 1
; COMPUTE_PGM_RSRC2:TGID_Y_EN: 0
; COMPUTE_PGM_RSRC2:TGID_Z_EN: 0
; COMPUTE_PGM_RSRC2:TIDIG_COMP_CNT: 0
; COMPUTE_PGM_RSRC3_GFX90A:ACCUM_OFFSET: 9
; COMPUTE_PGM_RSRC3_GFX90A:TG_SPLIT: 0
	.section	.text._Z30addBiasResidualPostLayerNormV2I6__halfLi64EEvPT_PKS1_S4_S4_S4_fi,"axG",@progbits,_Z30addBiasResidualPostLayerNormV2I6__halfLi64EEvPT_PKS1_S4_S4_S4_fi,comdat
	.protected	_Z30addBiasResidualPostLayerNormV2I6__halfLi64EEvPT_PKS1_S4_S4_S4_fi ; -- Begin function _Z30addBiasResidualPostLayerNormV2I6__halfLi64EEvPT_PKS1_S4_S4_S4_fi
	.globl	_Z30addBiasResidualPostLayerNormV2I6__halfLi64EEvPT_PKS1_S4_S4_S4_fi
	.p2align	8
	.type	_Z30addBiasResidualPostLayerNormV2I6__halfLi64EEvPT_PKS1_S4_S4_S4_fi,@function
_Z30addBiasResidualPostLayerNormV2I6__halfLi64EEvPT_PKS1_S4_S4_S4_fi: ; @_Z30addBiasResidualPostLayerNormV2I6__halfLi64EEvPT_PKS1_S4_S4_S4_fi
; %bb.0:
	s_load_dwordx2 s[16:17], s[0:1], 0x28
	s_load_dword s3, s[0:1], 0x3c
	s_load_dwordx4 s[8:11], s[0:1], 0x0
	s_load_dwordx2 s[6:7], s[0:1], 0x10
	s_add_u32 s4, s0, 48
	s_waitcnt lgkmcnt(0)
	s_mul_i32 s2, s17, s2
	s_addc_u32 s5, s1, 0
	s_and_b32 s12, s3, 0xffff
	s_lshr_b32 s3, s2, 31
	s_add_i32 s2, s2, s3
	s_ashr_i32 s2, s2, 1
	v_add_u32_e32 v4, s2, v0
	v_add_u32_e32 v10, s12, v4
	v_ashrrev_i32_e32 v11, 31, v10
	v_lshlrev_b64 v[12:13], 2, v[10:11]
	v_add_u32_e32 v10, s12, v10
	v_lshl_add_u64 v[14:15], s[8:9], 0, v[12:13]
	v_lshl_add_u64 v[12:13], s[10:11], 0, v[12:13]
	v_ashrrev_i32_e32 v11, 31, v10
	global_load_dword v18, v[12:13], off
	v_lshlrev_b64 v[12:13], 2, v[10:11]
	v_add_u32_e32 v10, s12, v10
	v_ashrrev_i32_e32 v5, 31, v4
	v_ashrrev_i32_e32 v11, 31, v10
	v_lshlrev_b64 v[6:7], 2, v[4:5]
	global_load_dword v17, v[14:15], off
	v_lshl_add_u64 v[14:15], s[8:9], 0, v[12:13]
	v_lshl_add_u64 v[12:13], s[10:11], 0, v[12:13]
	v_lshlrev_b64 v[10:11], 2, v[10:11]
	v_lshl_add_u64 v[2:3], s[8:9], 0, v[6:7]
	v_lshl_add_u64 v[6:7], s[10:11], 0, v[6:7]
	global_load_dword v20, v[12:13], off
	v_lshl_add_u64 v[12:13], s[8:9], 0, v[10:11]
	v_lshl_add_u64 v[10:11], s[10:11], 0, v[10:11]
	global_load_dword v5, v[6:7], off
	global_load_dword v1, v[2:3], off
	s_mov_b32 s3, 0
	global_load_dword v11, v[10:11], off
	v_mov_b32_e32 v7, 0
	v_lshlrev_b32_e32 v6, 2, v0
	v_lshl_add_u64 v[8:9], s[6:7], 0, v[6:7]
	s_lshl_b32 s2, s12, 2
	global_load_dword v16, v6, s[6:7]
	v_lshl_add_u64 v[8:9], v[8:9], 0, s[2:3]
	global_load_dword v19, v[8:9], off
	v_lshl_add_u64 v[8:9], v[8:9], 0, s[2:3]
	global_load_dword v14, v[14:15], off
	s_waitcnt vmcnt(4)
	v_pk_add_f16 v1, v1, v5
	global_load_dword v21, v[8:9], off
	v_lshl_add_u64 v[8:9], v[8:9], 0, s[2:3]
	global_load_dword v12, v[12:13], off
	s_waitcnt vmcnt(4)
	v_pk_add_f16 v15, v1, v16
	global_load_dword v9, v[8:9], off
	v_mbcnt_lo_u32_b32 v8, -1, 0
	v_mbcnt_hi_u32_b32 v22, -1, v8
	v_and_b32_e32 v8, 64, v22
	v_pk_add_f16 v1, v17, v18
	v_add_u32_e32 v23, 64, v8
	v_pk_add_f16 v5, v15, 0
	s_waitcnt vmcnt(4)
	v_pk_add_f16 v8, v1, v19
	s_waitcnt vmcnt(3)
	v_pk_add_f16 v1, v14, v20
	v_pk_add_f16 v5, v5, v8
	v_xor_b32_e32 v13, 32, v22
	v_cmp_lt_i32_e32 vcc, v13, v23
	v_xor_b32_e32 v17, 1, v22
	s_waitcnt vmcnt(2)
	v_pk_add_f16 v10, v1, v21
	s_nop 0
	v_pk_add_f16 v5, v5, v10
	s_waitcnt vmcnt(1)
	v_pk_add_f16 v1, v12, v11
	s_waitcnt vmcnt(0)
	v_pk_add_f16 v12, v1, v9
	s_nop 0
	v_pk_add_f16 v1, v5, v12
	v_xor_b32_e32 v5, 16, v22
	v_add_f16_sdwa v1, v1, v1 dst_sel:DWORD dst_unused:UNUSED_PAD src0_sel:DWORD src1_sel:WORD_1
	v_cvt_f32_f16_e32 v9, v1
	v_cndmask_b32_e32 v1, v22, v13, vcc
	v_lshlrev_b32_e32 v1, 2, v1
	v_cmp_lt_i32_e32 vcc, v5, v23
	ds_bpermute_b32 v11, v1, v9
	s_waitcnt lgkmcnt(0)
	v_add_f32_e32 v11, v9, v11
	v_cndmask_b32_e32 v5, v22, v5, vcc
	v_lshlrev_b32_e32 v5, 2, v5
	ds_bpermute_b32 v13, v5, v11
	v_xor_b32_e32 v9, 8, v22
	v_cmp_lt_i32_e32 vcc, v9, v23
	s_waitcnt lgkmcnt(0)
	v_add_f32_e32 v13, v11, v13
	v_cndmask_b32_e32 v9, v22, v9, vcc
	v_lshlrev_b32_e32 v9, 2, v9
	ds_bpermute_b32 v14, v9, v13
	v_xor_b32_e32 v11, 4, v22
	v_cmp_lt_i32_e32 vcc, v11, v23
	s_waitcnt lgkmcnt(0)
	v_add_f32_e32 v14, v13, v14
	v_cndmask_b32_e32 v11, v22, v11, vcc
	v_lshlrev_b32_e32 v11, 2, v11
	ds_bpermute_b32 v16, v11, v14
	v_xor_b32_e32 v13, 2, v22
	v_cmp_lt_i32_e32 vcc, v13, v23
	s_waitcnt lgkmcnt(0)
	v_add_f32_e32 v14, v14, v16
	v_cndmask_b32_e32 v13, v22, v13, vcc
	v_lshlrev_b32_e32 v13, 2, v13
	ds_bpermute_b32 v16, v13, v14
	v_cmp_lt_i32_e32 vcc, v17, v23
	s_waitcnt lgkmcnt(0)
	v_add_f32_e32 v18, v14, v16
	v_cndmask_b32_e32 v17, v22, v17, vcc
	v_lshlrev_b32_e32 v14, 2, v17
	ds_bpermute_b32 v19, v14, v18
	v_and_b32_e32 v17, 63, v0
	v_cmp_eq_u32_e64 s[2:3], 0, v17
	v_lshrrev_b32_e32 v16, 4, v0
	s_and_saveexec_b64 s[6:7], s[2:3]
	s_cbranch_execz .LBB8_2
; %bb.1:
	s_waitcnt lgkmcnt(0)
	v_add_f32_e32 v18, v18, v19
	ds_write_b32 v16, v18
.LBB8_2:
	s_or_b64 exec, exec, s[6:7]
	s_waitcnt lgkmcnt(0)
	s_barrier
	s_load_dword s18, s[4:5], 0xc
	v_lshlrev_b32_e32 v17, 2, v17
	s_waitcnt lgkmcnt(0)
	s_bfe_u32 s4, s18, 0xa0006
	v_cmp_gt_u32_e64 s[4:5], s4, v0
	s_and_saveexec_b64 s[6:7], s[4:5]
; %bb.3:
	ds_read_b32 v7, v17
; %bb.4:
	s_or_b64 exec, exec, s[6:7]
	s_waitcnt lgkmcnt(0)
	ds_bpermute_b32 v18, v1, v7
	v_cmp_eq_u32_e64 s[6:7], 0, v0
	s_waitcnt lgkmcnt(0)
	v_add_f32_e32 v7, v7, v18
	ds_bpermute_b32 v18, v5, v7
	s_waitcnt lgkmcnt(0)
	v_add_f32_e32 v7, v7, v18
	ds_bpermute_b32 v18, v9, v7
	;; [unrolled: 3-line block ×5, first 2 shown]
	v_cvt_f32_i32_e32 v7, s17
	s_and_saveexec_b64 s[10:11], s[6:7]
	s_cbranch_execz .LBB8_6
; %bb.5:
	s_waitcnt lgkmcnt(0)
	v_add_f32_e32 v0, v18, v19
	v_div_scale_f32 v18, s[12:13], v7, v7, v0
	v_rcp_f32_e32 v19, v18
	v_div_scale_f32 v20, vcc, v0, v7, v0
	v_fma_f32 v21, -v18, v19, 1.0
	v_fmac_f32_e32 v19, v21, v19
	v_mul_f32_e32 v21, v20, v19
	v_fma_f32 v22, -v18, v21, v20
	v_fmac_f32_e32 v21, v22, v19
	v_fma_f32 v18, -v18, v21, v20
	v_div_fmas_f32 v18, v18, v19, v21
	v_div_fixup_f32 v0, v18, v7, v0
	v_mov_b32_e32 v18, 0
	ds_write_b32 v18, v0 offset:68
.LBB8_6:
	s_or_b64 exec, exec, s[10:11]
	v_mov_b32_e32 v18, 0
	s_waitcnt lgkmcnt(0)
	s_barrier
	ds_read_b32 v0, v18 offset:68
	s_waitcnt lgkmcnt(0)
	v_cvt_f16_f32_e32 v19, v0
	v_pk_add_f16 v0, v15, v19 op_sel_hi:[1,0] neg_lo:[0,1] neg_hi:[0,1]
	v_pk_add_f16 v8, v8, v19 op_sel_hi:[1,0] neg_lo:[0,1] neg_hi:[0,1]
	v_cvt_f32_f16_sdwa v15, v0 dst_sel:DWORD dst_unused:UNUSED_PAD src0_sel:WORD_1
	v_cvt_f32_f16_sdwa v20, v8 dst_sel:DWORD dst_unused:UNUSED_PAD src0_sel:WORD_1
	v_pk_add_f16 v10, v10, v19 op_sel_hi:[1,0] neg_lo:[0,1] neg_hi:[0,1]
	v_pk_add_f16 v12, v12, v19 op_sel_hi:[1,0] neg_lo:[0,1] neg_hi:[0,1]
	v_cvt_f32_f16_sdwa v19, v10 dst_sel:DWORD dst_unused:UNUSED_PAD src0_sel:WORD_1
	v_mul_f32_e32 v15, v15, v15
	v_mul_f32_e32 v20, v20, v20
	v_fma_mix_f32 v15, v0, v0, v15 op_sel_hi:[1,1,0]
	v_fma_mix_f32 v20, v8, v8, v20 op_sel_hi:[1,1,0]
	v_mul_f32_e32 v19, v19, v19
	v_add_f32_e32 v15, v15, v20
	v_cvt_f32_f16_sdwa v20, v12 dst_sel:DWORD dst_unused:UNUSED_PAD src0_sel:WORD_1
	v_fma_mix_f32 v19, v10, v10, v19 op_sel_hi:[1,1,0]
	s_nop 0
	v_add_f32_e32 v15, v15, v19
	v_mul_f32_e32 v19, v20, v20
	v_fma_mix_f32 v19, v12, v12, v19 op_sel_hi:[1,1,0]
	s_nop 0
	v_add_f32_e32 v15, v15, v19
	ds_bpermute_b32 v19, v1, v15
	s_waitcnt lgkmcnt(0)
	v_add_f32_e32 v15, v15, v19
	ds_bpermute_b32 v19, v5, v15
	s_waitcnt lgkmcnt(0)
	;; [unrolled: 3-line block ×5, first 2 shown]
	v_add_f32_e32 v15, v15, v19
	ds_bpermute_b32 v19, v14, v15
	s_and_saveexec_b64 s[10:11], s[2:3]
	s_cbranch_execz .LBB8_8
; %bb.7:
	s_waitcnt lgkmcnt(0)
	v_add_f32_e32 v15, v15, v19
	ds_write_b32 v16, v15
.LBB8_8:
	s_or_b64 exec, exec, s[10:11]
	s_load_dwordx4 s[12:15], s[0:1], 0x18
	s_waitcnt lgkmcnt(0)
	s_barrier
	s_and_saveexec_b64 s[0:1], s[4:5]
; %bb.9:
	ds_read_b32 v18, v17
; %bb.10:
	s_or_b64 exec, exec, s[0:1]
	s_waitcnt lgkmcnt(0)
	ds_bpermute_b32 v1, v1, v18
	s_waitcnt lgkmcnt(0)
	v_add_f32_e32 v1, v18, v1
	ds_bpermute_b32 v5, v5, v1
	s_waitcnt lgkmcnt(0)
	v_add_f32_e32 v1, v1, v5
	;; [unrolled: 3-line block ×5, first 2 shown]
	ds_bpermute_b32 v5, v14, v1
	s_and_saveexec_b64 s[0:1], s[6:7]
	s_cbranch_execz .LBB8_12
; %bb.11:
	s_waitcnt lgkmcnt(0)
	v_add_f32_e32 v1, v1, v5
	v_div_scale_f32 v5, s[2:3], v7, v7, v1
	v_rcp_f32_e32 v9, v5
	v_div_scale_f32 v11, vcc, v1, v7, v1
	s_mov_b32 s2, 0x800000
	v_fma_f32 v13, -v5, v9, 1.0
	v_fmac_f32_e32 v9, v13, v9
	v_mul_f32_e32 v13, v11, v9
	v_fma_f32 v14, -v5, v13, v11
	v_fmac_f32_e32 v13, v14, v9
	v_fma_f32 v5, -v5, v13, v11
	v_div_fmas_f32 v5, v5, v9, v13
	v_div_fixup_f32 v1, v5, v7, v1
	v_add_f32_e32 v1, s16, v1
	v_mul_f32_e32 v5, 0x4b800000, v1
	v_cmp_gt_f32_e32 vcc, s2, v1
	s_nop 1
	v_cndmask_b32_e32 v1, v1, v5, vcc
	v_rsq_f32_e32 v1, v1
	s_nop 0
	v_mul_f32_e32 v5, 0x45800000, v1
	v_cndmask_b32_e32 v1, v1, v5, vcc
	v_mov_b32_e32 v5, 0
	ds_write_b32 v5, v1 offset:64
.LBB8_12:
	s_or_b64 exec, exec, s[0:1]
	s_and_b32 s2, 0xffff, s18
	v_mov_b32_e32 v7, 0
	s_mov_b32 s1, 0
	v_lshl_add_u64 v[14:15], s[12:13], 0, v[6:7]
	s_lshl_b32 s0, s2, 2
	v_lshl_add_u64 v[16:17], s[14:15], 0, v[6:7]
	v_lshl_add_u64 v[14:15], v[14:15], 0, s[0:1]
	s_waitcnt lgkmcnt(0)
	s_barrier
	global_load_dword v1, v6, s[12:13]
	global_load_dword v9, v6, s[14:15]
	global_load_dword v11, v[14:15], off
	v_lshl_add_u64 v[16:17], v[16:17], 0, s[0:1]
	v_lshl_add_u64 v[14:15], v[14:15], 0, s[0:1]
	global_load_dword v13, v[16:17], off
	global_load_dword v18, v[14:15], off
	v_lshl_add_u64 v[16:17], v[16:17], 0, s[0:1]
	v_lshl_add_u64 v[14:15], v[14:15], 0, s[0:1]
	global_load_dword v19, v[16:17], off
	global_load_dword v20, v[14:15], off
	v_lshl_add_u64 v[14:15], v[16:17], 0, s[0:1]
	global_load_dword v16, v[14:15], off
	ds_read_b32 v14, v7 offset:64
	v_add_u32_e32 v4, s2, v4
	v_ashrrev_i32_e32 v5, 31, v4
	v_add_u32_e32 v6, s2, v4
	v_lshl_add_u64 v[4:5], v[4:5], 2, s[8:9]
	s_waitcnt lgkmcnt(0)
	v_cvt_f16_f32_e32 v17, v14
	v_ashrrev_i32_e32 v7, 31, v6
	v_add_u32_e32 v14, s2, v6
	v_lshl_add_u64 v[6:7], v[6:7], 2, s[8:9]
	v_pk_mul_f16 v0, v17, v0 op_sel_hi:[0,1]
	v_pk_mul_f16 v8, v17, v8 op_sel_hi:[0,1]
	;; [unrolled: 1-line block ×3, first 2 shown]
	v_ashrrev_i32_e32 v15, 31, v14
	v_pk_mul_f16 v12, v17, v12 op_sel_hi:[0,1]
	s_waitcnt vmcnt(6)
	v_pk_fma_f16 v0, v0, v1, v9
	global_store_dword v[2:3], v0, off
	s_waitcnt vmcnt(5)
	v_pk_fma_f16 v0, v8, v11, v13
	global_store_dword v[4:5], v0, off
	;; [unrolled: 3-line block ×3, first 2 shown]
	v_lshl_add_u64 v[0:1], v[14:15], 2, s[8:9]
	s_waitcnt vmcnt(3)
	v_pk_fma_f16 v2, v12, v20, v16
	global_store_dword v[0:1], v2, off
	s_endpgm
	.section	.rodata,"a",@progbits
	.p2align	6, 0x0
	.amdhsa_kernel _Z30addBiasResidualPostLayerNormV2I6__halfLi64EEvPT_PKS1_S4_S4_S4_fi
		.amdhsa_group_segment_fixed_size 72
		.amdhsa_private_segment_fixed_size 0
		.amdhsa_kernarg_size 304
		.amdhsa_user_sgpr_count 2
		.amdhsa_user_sgpr_dispatch_ptr 0
		.amdhsa_user_sgpr_queue_ptr 0
		.amdhsa_user_sgpr_kernarg_segment_ptr 1
		.amdhsa_user_sgpr_dispatch_id 0
		.amdhsa_user_sgpr_kernarg_preload_length 0
		.amdhsa_user_sgpr_kernarg_preload_offset 0
		.amdhsa_user_sgpr_private_segment_size 0
		.amdhsa_uses_dynamic_stack 0
		.amdhsa_enable_private_segment 0
		.amdhsa_system_sgpr_workgroup_id_x 1
		.amdhsa_system_sgpr_workgroup_id_y 0
		.amdhsa_system_sgpr_workgroup_id_z 0
		.amdhsa_system_sgpr_workgroup_info 0
		.amdhsa_system_vgpr_workitem_id 0
		.amdhsa_next_free_vgpr 24
		.amdhsa_next_free_sgpr 19
		.amdhsa_accum_offset 24
		.amdhsa_reserve_vcc 1
		.amdhsa_float_round_mode_32 0
		.amdhsa_float_round_mode_16_64 0
		.amdhsa_float_denorm_mode_32 3
		.amdhsa_float_denorm_mode_16_64 3
		.amdhsa_dx10_clamp 1
		.amdhsa_ieee_mode 1
		.amdhsa_fp16_overflow 0
		.amdhsa_tg_split 0
		.amdhsa_exception_fp_ieee_invalid_op 0
		.amdhsa_exception_fp_denorm_src 0
		.amdhsa_exception_fp_ieee_div_zero 0
		.amdhsa_exception_fp_ieee_overflow 0
		.amdhsa_exception_fp_ieee_underflow 0
		.amdhsa_exception_fp_ieee_inexact 0
		.amdhsa_exception_int_div_zero 0
	.end_amdhsa_kernel
	.section	.text._Z30addBiasResidualPostLayerNormV2I6__halfLi64EEvPT_PKS1_S4_S4_S4_fi,"axG",@progbits,_Z30addBiasResidualPostLayerNormV2I6__halfLi64EEvPT_PKS1_S4_S4_S4_fi,comdat
.Lfunc_end8:
	.size	_Z30addBiasResidualPostLayerNormV2I6__halfLi64EEvPT_PKS1_S4_S4_S4_fi, .Lfunc_end8-_Z30addBiasResidualPostLayerNormV2I6__halfLi64EEvPT_PKS1_S4_S4_S4_fi
                                        ; -- End function
	.set _Z30addBiasResidualPostLayerNormV2I6__halfLi64EEvPT_PKS1_S4_S4_S4_fi.num_vgpr, 24
	.set _Z30addBiasResidualPostLayerNormV2I6__halfLi64EEvPT_PKS1_S4_S4_S4_fi.num_agpr, 0
	.set _Z30addBiasResidualPostLayerNormV2I6__halfLi64EEvPT_PKS1_S4_S4_S4_fi.numbered_sgpr, 19
	.set _Z30addBiasResidualPostLayerNormV2I6__halfLi64EEvPT_PKS1_S4_S4_S4_fi.num_named_barrier, 0
	.set _Z30addBiasResidualPostLayerNormV2I6__halfLi64EEvPT_PKS1_S4_S4_S4_fi.private_seg_size, 0
	.set _Z30addBiasResidualPostLayerNormV2I6__halfLi64EEvPT_PKS1_S4_S4_S4_fi.uses_vcc, 1
	.set _Z30addBiasResidualPostLayerNormV2I6__halfLi64EEvPT_PKS1_S4_S4_S4_fi.uses_flat_scratch, 0
	.set _Z30addBiasResidualPostLayerNormV2I6__halfLi64EEvPT_PKS1_S4_S4_S4_fi.has_dyn_sized_stack, 0
	.set _Z30addBiasResidualPostLayerNormV2I6__halfLi64EEvPT_PKS1_S4_S4_S4_fi.has_recursion, 0
	.set _Z30addBiasResidualPostLayerNormV2I6__halfLi64EEvPT_PKS1_S4_S4_S4_fi.has_indirect_call, 0
	.section	.AMDGPU.csdata,"",@progbits
; Kernel info:
; codeLenInByte = 1892
; TotalNumSgprs: 25
; NumVgprs: 24
; NumAgprs: 0
; TotalNumVgprs: 24
; ScratchSize: 0
; MemoryBound: 0
; FloatMode: 240
; IeeeMode: 1
; LDSByteSize: 72 bytes/workgroup (compile time only)
; SGPRBlocks: 3
; VGPRBlocks: 2
; NumSGPRsForWavesPerEU: 25
; NumVGPRsForWavesPerEU: 24
; AccumOffset: 24
; Occupancy: 8
; WaveLimiterHint : 0
; COMPUTE_PGM_RSRC2:SCRATCH_EN: 0
; COMPUTE_PGM_RSRC2:USER_SGPR: 2
; COMPUTE_PGM_RSRC2:TRAP_HANDLER: 0
; COMPUTE_PGM_RSRC2:TGID_X_EN: 1
; COMPUTE_PGM_RSRC2:TGID_Y_EN: 0
; COMPUTE_PGM_RSRC2:TGID_Z_EN: 0
; COMPUTE_PGM_RSRC2:TIDIG_COMP_CNT: 0
; COMPUTE_PGM_RSRC3_GFX90A:ACCUM_OFFSET: 5
; COMPUTE_PGM_RSRC3_GFX90A:TG_SPLIT: 0
	.section	.text._Z30addBiasResidualPostLayerNormV2I6__halfLi32EEvPT_PKS1_S4_S4_S4_fi,"axG",@progbits,_Z30addBiasResidualPostLayerNormV2I6__halfLi32EEvPT_PKS1_S4_S4_S4_fi,comdat
	.protected	_Z30addBiasResidualPostLayerNormV2I6__halfLi32EEvPT_PKS1_S4_S4_S4_fi ; -- Begin function _Z30addBiasResidualPostLayerNormV2I6__halfLi32EEvPT_PKS1_S4_S4_S4_fi
	.globl	_Z30addBiasResidualPostLayerNormV2I6__halfLi32EEvPT_PKS1_S4_S4_S4_fi
	.p2align	8
	.type	_Z30addBiasResidualPostLayerNormV2I6__halfLi32EEvPT_PKS1_S4_S4_S4_fi,@function
_Z30addBiasResidualPostLayerNormV2I6__halfLi32EEvPT_PKS1_S4_S4_S4_fi: ; @_Z30addBiasResidualPostLayerNormV2I6__halfLi32EEvPT_PKS1_S4_S4_S4_fi
; %bb.0:
	s_load_dword s3, s[0:1], 0x3c
	s_load_dwordx2 s[14:15], s[0:1], 0x28
	s_load_dwordx4 s[4:7], s[0:1], 0x0
	s_load_dwordx2 s[10:11], s[0:1], 0x10
	s_mov_b32 s13, 0
	s_waitcnt lgkmcnt(0)
	s_and_b32 s8, s3, 0xffff
	s_mul_i32 s2, s15, s2
	s_lshr_b32 s3, s2, 31
	s_add_i32 s2, s2, s3
	s_ashr_i32 s2, s2, 1
	v_add_u32_e32 v6, s2, v0
	v_add_u32_e32 v12, s8, v6
	v_ashrrev_i32_e32 v7, 31, v6
	v_ashrrev_i32_e32 v13, 31, v12
	v_lshlrev_b64 v[4:5], 2, v[6:7]
	v_lshlrev_b64 v[14:15], 2, v[12:13]
	v_add_u32_e32 v12, s8, v12
	v_lshl_add_u64 v[2:3], s[4:5], 0, v[4:5]
	v_lshl_add_u64 v[8:9], s[6:7], 0, v[4:5]
	v_mov_b32_e32 v5, 0
	v_lshlrev_b32_e32 v4, 2, v0
	v_lshl_add_u64 v[6:7], s[4:5], 0, v[14:15]
	v_lshl_add_u64 v[14:15], s[6:7], 0, v[14:15]
	v_ashrrev_i32_e32 v13, 31, v12
	v_lshl_add_u64 v[10:11], s[10:11], 0, v[4:5]
	global_load_dword v1, v4, s[10:11]
	global_load_dword v16, v[2:3], off
	global_load_dword v17, v[6:7], off
	;; [unrolled: 1-line block ×4, first 2 shown]
	s_lshl_b32 s12, s8, 2
	v_lshlrev_b64 v[14:15], 2, v[12:13]
	v_lshl_add_u64 v[10:11], v[10:11], 0, s[12:13]
	v_lshl_add_u64 v[8:9], s[4:5], 0, v[14:15]
	;; [unrolled: 1-line block ×3, first 2 shown]
	global_load_dword v21, v[10:11], off
	global_load_dword v22, v[14:15], off
	v_lshl_add_u64 v[14:15], v[10:11], 0, s[12:13]
	v_add_u32_e32 v10, s8, v12
	v_ashrrev_i32_e32 v11, 31, v10
	v_lshlrev_b64 v[12:13], 2, v[10:11]
	v_lshl_add_u64 v[10:11], s[4:5], 0, v[12:13]
	v_lshl_add_u64 v[12:13], s[6:7], 0, v[12:13]
	global_load_dword v23, v[14:15], off
	global_load_dword v24, v[8:9], off
	;; [unrolled: 1-line block ×4, first 2 shown]
	v_lshl_add_u64 v[12:13], v[14:15], 0, s[12:13]
	global_load_dword v12, v[12:13], off
	v_mbcnt_lo_u32_b32 v13, -1, 0
	v_mbcnt_hi_u32_b32 v15, -1, v13
	v_and_b32_e32 v13, 0x60, v15
	v_add_u32_e32 v27, 32, v13
	v_xor_b32_e32 v14, 16, v15
	v_cmp_lt_i32_e32 vcc, v14, v27
	s_waitcnt vmcnt(8)
	v_pk_add_f16 v13, v16, v18
	s_nop 0
	v_pk_add_f16 v19, v13, v1
	s_waitcnt vmcnt(7)
	v_pk_add_f16 v1, v17, v20
	v_pk_add_f16 v13, v19, 0
	s_waitcnt vmcnt(6)
	v_pk_add_f16 v16, v1, v21
	s_nop 0
	v_pk_add_f16 v13, v13, v16
	s_waitcnt vmcnt(3)
	v_pk_add_f16 v1, v24, v22
	s_nop 0
	v_pk_add_f16 v17, v1, v23
	s_waitcnt vmcnt(1)
	v_pk_add_f16 v1, v25, v26
	v_pk_add_f16 v13, v13, v17
	s_waitcnt vmcnt(0)
	v_pk_add_f16 v18, v1, v12
	v_xor_b32_e32 v12, 8, v15
	v_pk_add_f16 v1, v13, v18
	v_xor_b32_e32 v22, 1, v15
	v_add_f16_sdwa v1, v1, v1 dst_sel:DWORD dst_unused:UNUSED_PAD src0_sel:DWORD src1_sel:WORD_1
	v_cvt_f32_f16_e32 v13, v1
	v_cndmask_b32_e32 v1, v15, v14, vcc
	v_lshlrev_b32_e32 v1, 2, v1
	v_cmp_lt_i32_e32 vcc, v12, v27
	ds_bpermute_b32 v14, v1, v13
	s_waitcnt lgkmcnt(0)
	v_add_f32_e32 v14, v13, v14
	v_cndmask_b32_e32 v12, v15, v12, vcc
	v_lshlrev_b32_e32 v12, 2, v12
	ds_bpermute_b32 v20, v12, v14
	v_xor_b32_e32 v13, 4, v15
	v_cmp_lt_i32_e32 vcc, v13, v27
	s_waitcnt lgkmcnt(0)
	v_add_f32_e32 v20, v14, v20
	v_cndmask_b32_e32 v13, v15, v13, vcc
	v_lshlrev_b32_e32 v13, 2, v13
	ds_bpermute_b32 v21, v13, v20
	v_xor_b32_e32 v14, 2, v15
	v_cmp_lt_i32_e32 vcc, v14, v27
	s_waitcnt lgkmcnt(0)
	v_add_f32_e32 v20, v20, v21
	v_cndmask_b32_e32 v14, v15, v14, vcc
	v_lshlrev_b32_e32 v14, 2, v14
	ds_bpermute_b32 v21, v14, v20
	v_cmp_lt_i32_e32 vcc, v22, v27
	s_nop 1
	v_cndmask_b32_e32 v15, v15, v22, vcc
	s_waitcnt lgkmcnt(0)
	v_add_f32_e32 v22, v20, v21
	v_lshlrev_b32_e32 v15, 2, v15
	ds_bpermute_b32 v23, v15, v22
	v_and_b32_e32 v21, 31, v0
	v_cmp_eq_u32_e64 s[2:3], 0, v21
	v_lshrrev_b32_e32 v20, 3, v0
	s_and_saveexec_b64 s[4:5], s[2:3]
	s_cbranch_execz .LBB9_2
; %bb.1:
	s_waitcnt lgkmcnt(0)
	v_add_f32_e32 v22, v22, v23
	ds_write_b32 v20, v22
.LBB9_2:
	s_or_b64 exec, exec, s[4:5]
	s_lshr_b32 s4, s8, 5
	v_cmp_gt_u32_e64 s[4:5], s4, v0
	v_lshlrev_b32_e32 v21, 2, v21
	s_waitcnt lgkmcnt(0)
	s_barrier
	s_and_saveexec_b64 s[6:7], s[4:5]
; %bb.3:
	ds_read_b32 v5, v21
; %bb.4:
	s_or_b64 exec, exec, s[6:7]
	s_waitcnt lgkmcnt(0)
	ds_bpermute_b32 v22, v1, v5
	v_cmp_eq_u32_e64 s[6:7], 0, v0
	s_waitcnt lgkmcnt(0)
	v_add_f32_e32 v5, v5, v22
	ds_bpermute_b32 v22, v12, v5
	s_waitcnt lgkmcnt(0)
	v_add_f32_e32 v5, v5, v22
	ds_bpermute_b32 v22, v13, v5
	;; [unrolled: 3-line block ×4, first 2 shown]
	v_cvt_f32_i32_e32 v5, s15
	s_and_saveexec_b64 s[8:9], s[6:7]
	s_cbranch_execz .LBB9_6
; %bb.5:
	s_waitcnt lgkmcnt(0)
	v_add_f32_e32 v0, v22, v23
	v_div_scale_f32 v22, s[10:11], v5, v5, v0
	v_rcp_f32_e32 v23, v22
	v_div_scale_f32 v24, vcc, v0, v5, v0
	v_fma_f32 v25, -v22, v23, 1.0
	v_fmac_f32_e32 v23, v25, v23
	v_mul_f32_e32 v25, v24, v23
	v_fma_f32 v26, -v22, v25, v24
	v_fmac_f32_e32 v25, v26, v23
	v_fma_f32 v22, -v22, v25, v24
	v_div_fmas_f32 v22, v22, v23, v25
	v_div_fixup_f32 v0, v22, v5, v0
	v_mov_b32_e32 v22, 0
	ds_write_b32 v22, v0 offset:132
.LBB9_6:
	s_or_b64 exec, exec, s[8:9]
	v_mov_b32_e32 v22, 0
	s_waitcnt lgkmcnt(0)
	s_barrier
	ds_read_b32 v0, v22 offset:132
	s_waitcnt lgkmcnt(0)
	v_cvt_f16_f32_e32 v23, v0
	v_pk_add_f16 v0, v19, v23 op_sel_hi:[1,0] neg_lo:[0,1] neg_hi:[0,1]
	v_pk_add_f16 v16, v16, v23 op_sel_hi:[1,0] neg_lo:[0,1] neg_hi:[0,1]
	v_cvt_f32_f16_sdwa v19, v0 dst_sel:DWORD dst_unused:UNUSED_PAD src0_sel:WORD_1
	v_cvt_f32_f16_sdwa v24, v16 dst_sel:DWORD dst_unused:UNUSED_PAD src0_sel:WORD_1
	v_pk_add_f16 v17, v17, v23 op_sel_hi:[1,0] neg_lo:[0,1] neg_hi:[0,1]
	v_pk_add_f16 v18, v18, v23 op_sel_hi:[1,0] neg_lo:[0,1] neg_hi:[0,1]
	v_cvt_f32_f16_sdwa v23, v17 dst_sel:DWORD dst_unused:UNUSED_PAD src0_sel:WORD_1
	v_mul_f32_e32 v19, v19, v19
	v_mul_f32_e32 v24, v24, v24
	v_fma_mix_f32 v19, v0, v0, v19 op_sel_hi:[1,1,0]
	v_fma_mix_f32 v24, v16, v16, v24 op_sel_hi:[1,1,0]
	v_mul_f32_e32 v23, v23, v23
	v_add_f32_e32 v19, v19, v24
	v_cvt_f32_f16_sdwa v24, v18 dst_sel:DWORD dst_unused:UNUSED_PAD src0_sel:WORD_1
	v_fma_mix_f32 v23, v17, v17, v23 op_sel_hi:[1,1,0]
	s_nop 0
	v_add_f32_e32 v19, v19, v23
	v_mul_f32_e32 v23, v24, v24
	v_fma_mix_f32 v23, v18, v18, v23 op_sel_hi:[1,1,0]
	s_nop 0
	v_add_f32_e32 v19, v19, v23
	ds_bpermute_b32 v23, v1, v19
	s_waitcnt lgkmcnt(0)
	v_add_f32_e32 v19, v19, v23
	ds_bpermute_b32 v23, v12, v19
	s_waitcnt lgkmcnt(0)
	;; [unrolled: 3-line block ×4, first 2 shown]
	v_add_f32_e32 v19, v19, v23
	ds_bpermute_b32 v23, v15, v19
	s_and_saveexec_b64 s[8:9], s[2:3]
	s_cbranch_execz .LBB9_8
; %bb.7:
	s_waitcnt lgkmcnt(0)
	v_add_f32_e32 v19, v19, v23
	ds_write_b32 v20, v19
.LBB9_8:
	s_or_b64 exec, exec, s[8:9]
	s_load_dwordx4 s[8:11], s[0:1], 0x18
	s_waitcnt lgkmcnt(0)
	s_barrier
	s_and_saveexec_b64 s[0:1], s[4:5]
; %bb.9:
	ds_read_b32 v22, v21
; %bb.10:
	s_or_b64 exec, exec, s[0:1]
	s_waitcnt lgkmcnt(0)
	ds_bpermute_b32 v1, v1, v22
	s_waitcnt lgkmcnt(0)
	v_add_f32_e32 v1, v22, v1
	ds_bpermute_b32 v12, v12, v1
	s_waitcnt lgkmcnt(0)
	v_add_f32_e32 v1, v1, v12
	;; [unrolled: 3-line block ×4, first 2 shown]
	ds_bpermute_b32 v12, v15, v1
	s_and_saveexec_b64 s[0:1], s[6:7]
	s_cbranch_execz .LBB9_12
; %bb.11:
	s_waitcnt lgkmcnt(0)
	v_add_f32_e32 v1, v1, v12
	v_div_scale_f32 v12, s[2:3], v5, v5, v1
	v_rcp_f32_e32 v13, v12
	v_div_scale_f32 v14, vcc, v1, v5, v1
	s_mov_b32 s2, 0x800000
	v_fma_f32 v15, -v12, v13, 1.0
	v_fmac_f32_e32 v13, v15, v13
	v_mul_f32_e32 v15, v14, v13
	v_fma_f32 v19, -v12, v15, v14
	v_fmac_f32_e32 v15, v19, v13
	v_fma_f32 v12, -v12, v15, v14
	v_div_fmas_f32 v12, v12, v13, v15
	v_div_fixup_f32 v1, v12, v5, v1
	v_add_f32_e32 v1, s14, v1
	v_mul_f32_e32 v5, 0x4b800000, v1
	v_cmp_gt_f32_e32 vcc, s2, v1
	s_nop 1
	v_cndmask_b32_e32 v1, v1, v5, vcc
	v_rsq_f32_e32 v1, v1
	s_nop 0
	v_mul_f32_e32 v5, 0x45800000, v1
	v_cndmask_b32_e32 v1, v1, v5, vcc
	v_mov_b32_e32 v5, 0
	ds_write_b32 v5, v1 offset:128
.LBB9_12:
	s_or_b64 exec, exec, s[0:1]
	v_mov_b32_e32 v5, 0
	s_waitcnt lgkmcnt(0)
	v_lshl_add_u64 v[12:13], s[8:9], 0, v[4:5]
	v_lshl_add_u64 v[14:15], s[10:11], 0, v[4:5]
	;; [unrolled: 1-line block ×3, first 2 shown]
	s_barrier
	global_load_dword v1, v4, s[8:9]
	global_load_dword v19, v4, s[10:11]
	v_lshl_add_u64 v[14:15], v[14:15], 0, s[12:13]
	global_load_dword v4, v[12:13], off
	v_lshl_add_u64 v[12:13], v[12:13], 0, s[12:13]
	global_load_dword v20, v[14:15], off
	global_load_dword v21, v[12:13], off
	v_lshl_add_u64 v[14:15], v[14:15], 0, s[12:13]
	v_lshl_add_u64 v[12:13], v[12:13], 0, s[12:13]
	global_load_dword v22, v[14:15], off
	global_load_dword v23, v[12:13], off
	v_lshl_add_u64 v[12:13], v[14:15], 0, s[12:13]
	global_load_dword v12, v[12:13], off
	ds_read_b32 v5, v5 offset:128
	s_waitcnt lgkmcnt(0)
	v_cvt_f16_f32_e32 v5, v5
	v_pk_mul_f16 v0, v5, v0 op_sel_hi:[0,1]
	v_pk_mul_f16 v13, v5, v16 op_sel_hi:[0,1]
	;; [unrolled: 1-line block ×4, first 2 shown]
	s_waitcnt vmcnt(6)
	v_pk_fma_f16 v0, v0, v1, v19
	global_store_dword v[2:3], v0, off
	s_waitcnt vmcnt(5)
	v_pk_fma_f16 v0, v13, v4, v20
	global_store_dword v[6:7], v0, off
	;; [unrolled: 3-line block ×4, first 2 shown]
	s_endpgm
	.section	.rodata,"a",@progbits
	.p2align	6, 0x0
	.amdhsa_kernel _Z30addBiasResidualPostLayerNormV2I6__halfLi32EEvPT_PKS1_S4_S4_S4_fi
		.amdhsa_group_segment_fixed_size 136
		.amdhsa_private_segment_fixed_size 0
		.amdhsa_kernarg_size 304
		.amdhsa_user_sgpr_count 2
		.amdhsa_user_sgpr_dispatch_ptr 0
		.amdhsa_user_sgpr_queue_ptr 0
		.amdhsa_user_sgpr_kernarg_segment_ptr 1
		.amdhsa_user_sgpr_dispatch_id 0
		.amdhsa_user_sgpr_kernarg_preload_length 0
		.amdhsa_user_sgpr_kernarg_preload_offset 0
		.amdhsa_user_sgpr_private_segment_size 0
		.amdhsa_uses_dynamic_stack 0
		.amdhsa_enable_private_segment 0
		.amdhsa_system_sgpr_workgroup_id_x 1
		.amdhsa_system_sgpr_workgroup_id_y 0
		.amdhsa_system_sgpr_workgroup_id_z 0
		.amdhsa_system_sgpr_workgroup_info 0
		.amdhsa_system_vgpr_workitem_id 0
		.amdhsa_next_free_vgpr 28
		.amdhsa_next_free_sgpr 16
		.amdhsa_accum_offset 28
		.amdhsa_reserve_vcc 1
		.amdhsa_float_round_mode_32 0
		.amdhsa_float_round_mode_16_64 0
		.amdhsa_float_denorm_mode_32 3
		.amdhsa_float_denorm_mode_16_64 3
		.amdhsa_dx10_clamp 1
		.amdhsa_ieee_mode 1
		.amdhsa_fp16_overflow 0
		.amdhsa_tg_split 0
		.amdhsa_exception_fp_ieee_invalid_op 0
		.amdhsa_exception_fp_denorm_src 0
		.amdhsa_exception_fp_ieee_div_zero 0
		.amdhsa_exception_fp_ieee_overflow 0
		.amdhsa_exception_fp_ieee_underflow 0
		.amdhsa_exception_fp_ieee_inexact 0
		.amdhsa_exception_int_div_zero 0
	.end_amdhsa_kernel
	.section	.text._Z30addBiasResidualPostLayerNormV2I6__halfLi32EEvPT_PKS1_S4_S4_S4_fi,"axG",@progbits,_Z30addBiasResidualPostLayerNormV2I6__halfLi32EEvPT_PKS1_S4_S4_S4_fi,comdat
.Lfunc_end9:
	.size	_Z30addBiasResidualPostLayerNormV2I6__halfLi32EEvPT_PKS1_S4_S4_S4_fi, .Lfunc_end9-_Z30addBiasResidualPostLayerNormV2I6__halfLi32EEvPT_PKS1_S4_S4_S4_fi
                                        ; -- End function
	.set _Z30addBiasResidualPostLayerNormV2I6__halfLi32EEvPT_PKS1_S4_S4_S4_fi.num_vgpr, 28
	.set _Z30addBiasResidualPostLayerNormV2I6__halfLi32EEvPT_PKS1_S4_S4_S4_fi.num_agpr, 0
	.set _Z30addBiasResidualPostLayerNormV2I6__halfLi32EEvPT_PKS1_S4_S4_S4_fi.numbered_sgpr, 16
	.set _Z30addBiasResidualPostLayerNormV2I6__halfLi32EEvPT_PKS1_S4_S4_S4_fi.num_named_barrier, 0
	.set _Z30addBiasResidualPostLayerNormV2I6__halfLi32EEvPT_PKS1_S4_S4_S4_fi.private_seg_size, 0
	.set _Z30addBiasResidualPostLayerNormV2I6__halfLi32EEvPT_PKS1_S4_S4_S4_fi.uses_vcc, 1
	.set _Z30addBiasResidualPostLayerNormV2I6__halfLi32EEvPT_PKS1_S4_S4_S4_fi.uses_flat_scratch, 0
	.set _Z30addBiasResidualPostLayerNormV2I6__halfLi32EEvPT_PKS1_S4_S4_S4_fi.has_dyn_sized_stack, 0
	.set _Z30addBiasResidualPostLayerNormV2I6__halfLi32EEvPT_PKS1_S4_S4_S4_fi.has_recursion, 0
	.set _Z30addBiasResidualPostLayerNormV2I6__halfLi32EEvPT_PKS1_S4_S4_S4_fi.has_indirect_call, 0
	.section	.AMDGPU.csdata,"",@progbits
; Kernel info:
; codeLenInByte = 1732
; TotalNumSgprs: 22
; NumVgprs: 28
; NumAgprs: 0
; TotalNumVgprs: 28
; ScratchSize: 0
; MemoryBound: 0
; FloatMode: 240
; IeeeMode: 1
; LDSByteSize: 136 bytes/workgroup (compile time only)
; SGPRBlocks: 2
; VGPRBlocks: 3
; NumSGPRsForWavesPerEU: 22
; NumVGPRsForWavesPerEU: 28
; AccumOffset: 28
; Occupancy: 8
; WaveLimiterHint : 0
; COMPUTE_PGM_RSRC2:SCRATCH_EN: 0
; COMPUTE_PGM_RSRC2:USER_SGPR: 2
; COMPUTE_PGM_RSRC2:TRAP_HANDLER: 0
; COMPUTE_PGM_RSRC2:TGID_X_EN: 1
; COMPUTE_PGM_RSRC2:TGID_Y_EN: 0
; COMPUTE_PGM_RSRC2:TGID_Z_EN: 0
; COMPUTE_PGM_RSRC2:TIDIG_COMP_CNT: 0
; COMPUTE_PGM_RSRC3_GFX90A:ACCUM_OFFSET: 6
; COMPUTE_PGM_RSRC3_GFX90A:TG_SPLIT: 0
	.section	.text._Z28addBiasResidualPostLayerNormI6__halfLi1ELi64EEvPT_PKS1_S4_S4_S4_fi,"axG",@progbits,_Z28addBiasResidualPostLayerNormI6__halfLi1ELi64EEvPT_PKS1_S4_S4_S4_fi,comdat
	.protected	_Z28addBiasResidualPostLayerNormI6__halfLi1ELi64EEvPT_PKS1_S4_S4_S4_fi ; -- Begin function _Z28addBiasResidualPostLayerNormI6__halfLi1ELi64EEvPT_PKS1_S4_S4_S4_fi
	.globl	_Z28addBiasResidualPostLayerNormI6__halfLi1ELi64EEvPT_PKS1_S4_S4_S4_fi
	.p2align	8
	.type	_Z28addBiasResidualPostLayerNormI6__halfLi1ELi64EEvPT_PKS1_S4_S4_S4_fi,@function
_Z28addBiasResidualPostLayerNormI6__halfLi1ELi64EEvPT_PKS1_S4_S4_S4_fi: ; @_Z28addBiasResidualPostLayerNormI6__halfLi1ELi64EEvPT_PKS1_S4_S4_S4_fi
; %bb.0:
	s_load_dwordx2 s[14:15], s[0:1], 0x28
	s_load_dwordx2 s[12:13], s[0:1], 0x0
	v_mov_b32_e32 v5, 0
	v_lshlrev_b32_e32 v1, 1, v0
                                        ; implicit-def: $vgpr4
	s_waitcnt lgkmcnt(0)
	s_mul_i32 s2, s15, s2
	v_cmp_gt_i32_e64 s[10:11], s15, v0
	v_add_u32_e32 v2, s2, v0
	s_and_saveexec_b64 s[2:3], s[10:11]
	s_cbranch_execz .LBB10_2
; %bb.1:
	s_load_dwordx4 s[4:7], s[0:1], 0x8
	v_mov_b32_e32 v3, 0
	v_lshlrev_b64 v[4:5], 1, v[2:3]
	v_lshl_add_u64 v[6:7], s[12:13], 0, v[4:5]
	global_load_ushort v3, v[6:7], off
	s_waitcnt lgkmcnt(0)
	v_lshl_add_u64 v[4:5], s[4:5], 0, v[4:5]
	global_load_ushort v6, v[4:5], off
	global_load_ushort v7, v1, s[6:7]
	s_waitcnt vmcnt(1)
	v_add_f16_e32 v3, v3, v6
	s_waitcnt vmcnt(0)
	v_add_f16_e32 v3, v3, v7
	v_cvt_f32_f16_e32 v4, v3
	v_add_f32_e32 v5, 0, v4
.LBB10_2:
	s_or_b64 exec, exec, s[2:3]
	v_mbcnt_lo_u32_b32 v3, -1, 0
	v_mbcnt_hi_u32_b32 v9, -1, v3
	v_and_b32_e32 v3, 64, v9
	v_add_u32_e32 v10, 64, v3
	v_xor_b32_e32 v3, 32, v9
	v_cmp_lt_i32_e32 vcc, v3, v10
	v_xor_b32_e32 v7, 16, v9
	v_xor_b32_e32 v8, 8, v9
	v_cndmask_b32_e32 v3, v9, v3, vcc
	v_lshlrev_b32_e32 v3, 2, v3
	ds_bpermute_b32 v6, v3, v5
	v_cmp_lt_i32_e32 vcc, v7, v10
	v_xor_b32_e32 v11, 4, v9
	v_xor_b32_e32 v12, 2, v9
	;; [unrolled: 1-line block ×3, first 2 shown]
	s_waitcnt lgkmcnt(0)
	v_add_f32_e32 v6, v5, v6
	v_cndmask_b32_e32 v5, v9, v7, vcc
	v_lshlrev_b32_e32 v5, 2, v5
	ds_bpermute_b32 v7, v5, v6
	v_cmp_lt_i32_e32 vcc, v8, v10
	s_waitcnt lgkmcnt(0)
	v_add_f32_e32 v7, v6, v7
	v_cndmask_b32_e32 v6, v9, v8, vcc
	v_lshlrev_b32_e32 v6, 2, v6
	ds_bpermute_b32 v8, v6, v7
	v_cmp_lt_i32_e32 vcc, v11, v10
	;; [unrolled: 6-line block ×4, first 2 shown]
	v_and_b32_e32 v10, 63, v0
	v_cmp_eq_u32_e64 s[4:5], 0, v10
	v_cndmask_b32_e32 v9, v9, v13, vcc
	s_waitcnt lgkmcnt(0)
	v_add_f32_e32 v12, v11, v12
	v_lshlrev_b32_e32 v9, 2, v9
	ds_bpermute_b32 v13, v9, v12
	v_lshrrev_b32_e32 v11, 4, v0
	s_and_saveexec_b64 s[2:3], s[4:5]
	s_cbranch_execz .LBB10_4
; %bb.3:
	s_waitcnt lgkmcnt(0)
	v_add_f32_e32 v12, v12, v13
	ds_write_b32 v11, v12
.LBB10_4:
	s_or_b64 exec, exec, s[2:3]
	s_waitcnt lgkmcnt(0)
	s_barrier
	s_load_dword s2, s[0:1], 0x3c
	v_mov_b32_e32 v13, 0
	v_lshlrev_b32_e32 v12, 2, v10
	s_waitcnt lgkmcnt(0)
	s_bfe_u32 s2, s2, 0xa0006
	v_cmp_gt_u32_e64 s[6:7], s2, v0
	s_and_saveexec_b64 s[2:3], s[6:7]
; %bb.5:
	ds_read_b32 v13, v12
; %bb.6:
	s_or_b64 exec, exec, s[2:3]
	s_waitcnt lgkmcnt(0)
	ds_bpermute_b32 v10, v3, v13
	v_cmp_eq_u32_e64 s[8:9], 0, v0
	s_waitcnt lgkmcnt(0)
	v_add_f32_e32 v10, v13, v10
	ds_bpermute_b32 v13, v5, v10
	s_waitcnt lgkmcnt(0)
	v_add_f32_e32 v10, v10, v13
	ds_bpermute_b32 v13, v6, v10
	;; [unrolled: 3-line block ×5, first 2 shown]
	v_cvt_f32_i32_e32 v10, s15
	s_and_saveexec_b64 s[2:3], s[8:9]
	s_cbranch_execz .LBB10_8
; %bb.7:
	s_waitcnt lgkmcnt(0)
	v_add_f32_e32 v0, v13, v14
	v_div_scale_f32 v13, s[16:17], v10, v10, v0
	v_rcp_f32_e32 v14, v13
	v_div_scale_f32 v15, vcc, v0, v10, v0
	v_fma_f32 v16, -v13, v14, 1.0
	v_fmac_f32_e32 v14, v16, v14
	v_mul_f32_e32 v16, v15, v14
	v_fma_f32 v17, -v13, v16, v15
	v_fmac_f32_e32 v16, v17, v14
	v_fma_f32 v13, -v13, v16, v15
	v_div_fmas_f32 v13, v13, v14, v16
	v_div_fixup_f32 v0, v13, v10, v0
	v_mov_b32_e32 v13, 0
	ds_write_b32 v13, v0 offset:68
.LBB10_8:
	s_or_b64 exec, exec, s[2:3]
	v_mov_b32_e32 v0, 0
	s_waitcnt lgkmcnt(0)
	s_barrier
	ds_read_b32 v13, v0 offset:68
	s_waitcnt lgkmcnt(0)
	v_sub_f32_e32 v13, v4, v13
	v_mul_f32_e32 v13, v13, v13
	v_cndmask_b32_e64 v13, 0, v13, s[10:11]
	ds_bpermute_b32 v14, v3, v13
	s_waitcnt lgkmcnt(0)
	v_add_f32_e32 v13, v13, v14
	ds_bpermute_b32 v14, v5, v13
	s_waitcnt lgkmcnt(0)
	v_add_f32_e32 v13, v13, v14
	;; [unrolled: 3-line block ×5, first 2 shown]
	ds_bpermute_b32 v14, v9, v13
	s_and_saveexec_b64 s[2:3], s[4:5]
	s_cbranch_execz .LBB10_10
; %bb.9:
	s_waitcnt lgkmcnt(0)
	v_add_f32_e32 v13, v13, v14
	ds_write_b32 v11, v13
.LBB10_10:
	s_or_b64 exec, exec, s[2:3]
	s_waitcnt lgkmcnt(0)
	s_barrier
	s_and_saveexec_b64 s[2:3], s[6:7]
; %bb.11:
	ds_read_b32 v0, v12
; %bb.12:
	s_or_b64 exec, exec, s[2:3]
	s_waitcnt lgkmcnt(0)
	ds_bpermute_b32 v3, v3, v0
	s_waitcnt lgkmcnt(0)
	v_add_f32_e32 v0, v0, v3
	ds_bpermute_b32 v3, v5, v0
	s_waitcnt lgkmcnt(0)
	v_add_f32_e32 v0, v0, v3
	;; [unrolled: 3-line block ×5, first 2 shown]
	ds_bpermute_b32 v3, v9, v0
	s_and_saveexec_b64 s[2:3], s[8:9]
	s_cbranch_execz .LBB10_14
; %bb.13:
	s_waitcnt lgkmcnt(0)
	v_add_f32_e32 v0, v0, v3
	v_div_scale_f32 v3, s[4:5], v10, v10, v0
	v_rcp_f32_e32 v5, v3
	v_div_scale_f32 v6, vcc, v0, v10, v0
	v_fma_f32 v7, -v3, v5, 1.0
	v_fmac_f32_e32 v5, v7, v5
	v_mul_f32_e32 v7, v6, v5
	v_fma_f32 v8, -v3, v7, v6
	v_fmac_f32_e32 v7, v8, v5
	v_fma_f32 v3, -v3, v7, v6
	v_div_fmas_f32 v3, v3, v5, v7
	v_div_fixup_f32 v0, v3, v10, v0
	v_add_f32_e32 v0, s14, v0
	v_mov_b32_e32 v3, 0
	ds_write_b32 v3, v0 offset:64
.LBB10_14:
	s_or_b64 exec, exec, s[2:3]
	s_waitcnt lgkmcnt(0)
	s_barrier
	s_and_saveexec_b64 s[2:3], s[10:11]
	s_cbranch_execz .LBB10_16
; %bb.15:
	s_load_dwordx4 s[4:7], s[0:1], 0x18
	v_mov_b32_e32 v3, 0
	s_mov_b32 s0, 0x800000
	s_waitcnt lgkmcnt(0)
	global_load_ushort v5, v1, s[4:5]
	global_load_ushort v6, v1, s[6:7]
	ds_read_b64 v[0:1], v3 offset:64
	s_waitcnt lgkmcnt(0)
	v_mul_f32_e32 v7, 0x4b800000, v0
	v_cmp_gt_f32_e32 vcc, s0, v0
	v_sub_f32_e32 v1, v4, v1
	s_nop 0
	v_cndmask_b32_e32 v0, v0, v7, vcc
	v_rsq_f32_e32 v0, v0
	s_nop 0
	v_mul_f32_e32 v4, 0x45800000, v0
	v_cndmask_b32_e32 v0, v0, v4, vcc
	v_mul_f32_e32 v0, v1, v0
	s_waitcnt vmcnt(0)
	v_fma_mixlo_f16 v4, v0, v5, v6 op_sel_hi:[0,1,1]
	v_lshl_add_u64 v[0:1], v[2:3], 1, s[12:13]
	global_store_short v[0:1], v4, off
.LBB10_16:
	s_endpgm
	.section	.rodata,"a",@progbits
	.p2align	6, 0x0
	.amdhsa_kernel _Z28addBiasResidualPostLayerNormI6__halfLi1ELi64EEvPT_PKS1_S4_S4_S4_fi
		.amdhsa_group_segment_fixed_size 72
		.amdhsa_private_segment_fixed_size 0
		.amdhsa_kernarg_size 304
		.amdhsa_user_sgpr_count 2
		.amdhsa_user_sgpr_dispatch_ptr 0
		.amdhsa_user_sgpr_queue_ptr 0
		.amdhsa_user_sgpr_kernarg_segment_ptr 1
		.amdhsa_user_sgpr_dispatch_id 0
		.amdhsa_user_sgpr_kernarg_preload_length 0
		.amdhsa_user_sgpr_kernarg_preload_offset 0
		.amdhsa_user_sgpr_private_segment_size 0
		.amdhsa_uses_dynamic_stack 0
		.amdhsa_enable_private_segment 0
		.amdhsa_system_sgpr_workgroup_id_x 1
		.amdhsa_system_sgpr_workgroup_id_y 0
		.amdhsa_system_sgpr_workgroup_id_z 0
		.amdhsa_system_sgpr_workgroup_info 0
		.amdhsa_system_vgpr_workitem_id 0
		.amdhsa_next_free_vgpr 18
		.amdhsa_next_free_sgpr 18
		.amdhsa_accum_offset 20
		.amdhsa_reserve_vcc 1
		.amdhsa_float_round_mode_32 0
		.amdhsa_float_round_mode_16_64 0
		.amdhsa_float_denorm_mode_32 3
		.amdhsa_float_denorm_mode_16_64 3
		.amdhsa_dx10_clamp 1
		.amdhsa_ieee_mode 1
		.amdhsa_fp16_overflow 0
		.amdhsa_tg_split 0
		.amdhsa_exception_fp_ieee_invalid_op 0
		.amdhsa_exception_fp_denorm_src 0
		.amdhsa_exception_fp_ieee_div_zero 0
		.amdhsa_exception_fp_ieee_overflow 0
		.amdhsa_exception_fp_ieee_underflow 0
		.amdhsa_exception_fp_ieee_inexact 0
		.amdhsa_exception_int_div_zero 0
	.end_amdhsa_kernel
	.section	.text._Z28addBiasResidualPostLayerNormI6__halfLi1ELi64EEvPT_PKS1_S4_S4_S4_fi,"axG",@progbits,_Z28addBiasResidualPostLayerNormI6__halfLi1ELi64EEvPT_PKS1_S4_S4_S4_fi,comdat
.Lfunc_end10:
	.size	_Z28addBiasResidualPostLayerNormI6__halfLi1ELi64EEvPT_PKS1_S4_S4_S4_fi, .Lfunc_end10-_Z28addBiasResidualPostLayerNormI6__halfLi1ELi64EEvPT_PKS1_S4_S4_S4_fi
                                        ; -- End function
	.set _Z28addBiasResidualPostLayerNormI6__halfLi1ELi64EEvPT_PKS1_S4_S4_S4_fi.num_vgpr, 18
	.set _Z28addBiasResidualPostLayerNormI6__halfLi1ELi64EEvPT_PKS1_S4_S4_S4_fi.num_agpr, 0
	.set _Z28addBiasResidualPostLayerNormI6__halfLi1ELi64EEvPT_PKS1_S4_S4_S4_fi.numbered_sgpr, 18
	.set _Z28addBiasResidualPostLayerNormI6__halfLi1ELi64EEvPT_PKS1_S4_S4_S4_fi.num_named_barrier, 0
	.set _Z28addBiasResidualPostLayerNormI6__halfLi1ELi64EEvPT_PKS1_S4_S4_S4_fi.private_seg_size, 0
	.set _Z28addBiasResidualPostLayerNormI6__halfLi1ELi64EEvPT_PKS1_S4_S4_S4_fi.uses_vcc, 1
	.set _Z28addBiasResidualPostLayerNormI6__halfLi1ELi64EEvPT_PKS1_S4_S4_S4_fi.uses_flat_scratch, 0
	.set _Z28addBiasResidualPostLayerNormI6__halfLi1ELi64EEvPT_PKS1_S4_S4_S4_fi.has_dyn_sized_stack, 0
	.set _Z28addBiasResidualPostLayerNormI6__halfLi1ELi64EEvPT_PKS1_S4_S4_S4_fi.has_recursion, 0
	.set _Z28addBiasResidualPostLayerNormI6__halfLi1ELi64EEvPT_PKS1_S4_S4_S4_fi.has_indirect_call, 0
	.section	.AMDGPU.csdata,"",@progbits
; Kernel info:
; codeLenInByte = 1192
; TotalNumSgprs: 24
; NumVgprs: 18
; NumAgprs: 0
; TotalNumVgprs: 18
; ScratchSize: 0
; MemoryBound: 0
; FloatMode: 240
; IeeeMode: 1
; LDSByteSize: 72 bytes/workgroup (compile time only)
; SGPRBlocks: 2
; VGPRBlocks: 2
; NumSGPRsForWavesPerEU: 24
; NumVGPRsForWavesPerEU: 18
; AccumOffset: 20
; Occupancy: 8
; WaveLimiterHint : 0
; COMPUTE_PGM_RSRC2:SCRATCH_EN: 0
; COMPUTE_PGM_RSRC2:USER_SGPR: 2
; COMPUTE_PGM_RSRC2:TRAP_HANDLER: 0
; COMPUTE_PGM_RSRC2:TGID_X_EN: 1
; COMPUTE_PGM_RSRC2:TGID_Y_EN: 0
; COMPUTE_PGM_RSRC2:TGID_Z_EN: 0
; COMPUTE_PGM_RSRC2:TIDIG_COMP_CNT: 0
; COMPUTE_PGM_RSRC3_GFX90A:ACCUM_OFFSET: 4
; COMPUTE_PGM_RSRC3_GFX90A:TG_SPLIT: 0
	.section	.text._Z28addBiasResidualPostLayerNormI6__halfLi2ELi64EEvPT_PKS1_S4_S4_S4_fi,"axG",@progbits,_Z28addBiasResidualPostLayerNormI6__halfLi2ELi64EEvPT_PKS1_S4_S4_S4_fi,comdat
	.protected	_Z28addBiasResidualPostLayerNormI6__halfLi2ELi64EEvPT_PKS1_S4_S4_S4_fi ; -- Begin function _Z28addBiasResidualPostLayerNormI6__halfLi2ELi64EEvPT_PKS1_S4_S4_S4_fi
	.globl	_Z28addBiasResidualPostLayerNormI6__halfLi2ELi64EEvPT_PKS1_S4_S4_S4_fi
	.p2align	8
	.type	_Z28addBiasResidualPostLayerNormI6__halfLi2ELi64EEvPT_PKS1_S4_S4_S4_fi,@function
_Z28addBiasResidualPostLayerNormI6__halfLi2ELi64EEvPT_PKS1_S4_S4_S4_fi: ; @_Z28addBiasResidualPostLayerNormI6__halfLi2ELi64EEvPT_PKS1_S4_S4_S4_fi
; %bb.0:
	s_load_dwordx2 s[14:15], s[0:1], 0x28
	s_load_dwordx2 s[12:13], s[0:1], 0x0
	v_mov_b32_e32 v7, 0
	v_lshlrev_b32_e32 v4, 1, v0
	v_mov_b32_e32 v6, 0
	s_waitcnt lgkmcnt(0)
	s_mul_i32 s16, s15, s2
	v_cmp_gt_i32_e64 s[10:11], s15, v0
	v_add_u32_e32 v2, s16, v0
	v_mov_b32_e32 v3, v7
	s_and_saveexec_b64 s[2:3], s[10:11]
	s_cbranch_execz .LBB11_4
; %bb.1:
	s_load_dwordx4 s[4:7], s[0:1], 0x8
	s_load_dword s8, s[0:1], 0x3c
	v_mov_b32_e32 v3, 0
	v_lshlrev_b64 v[6:7], 1, v[2:3]
	v_lshl_add_u64 v[8:9], s[12:13], 0, v[6:7]
	global_load_ushort v1, v[8:9], off
	s_waitcnt lgkmcnt(0)
	v_lshl_add_u64 v[6:7], s[4:5], 0, v[6:7]
	global_load_ushort v5, v[6:7], off
	global_load_ushort v8, v4, s[6:7]
	s_and_b32 s17, s8, 0xffff
	s_waitcnt vmcnt(1)
	v_add_f16_e32 v1, v1, v5
	s_waitcnt vmcnt(0)
	v_add_f16_e32 v1, v1, v8
	v_cvt_f32_f16_e32 v6, v1
	v_add_u32_e32 v1, s17, v0
	v_cmp_gt_u32_e32 vcc, s15, v1
	v_add_f32_e32 v7, 0, v6
	s_and_saveexec_b64 s[8:9], vcc
	s_cbranch_execz .LBB11_3
; %bb.2:
	v_add_u32_e32 v10, s16, v1
	v_mov_b32_e32 v11, v3
	v_mov_b32_e32 v5, v3
	v_lshlrev_b64 v[10:11], 1, v[10:11]
	v_lshl_add_u64 v[8:9], s[6:7], 0, v[4:5]
	s_mov_b32 s7, 0
	v_lshl_add_u64 v[12:13], s[12:13], 0, v[10:11]
	v_lshl_add_u64 v[10:11], s[4:5], 0, v[10:11]
	s_lshl_b32 s6, s17, 1
	global_load_ushort v1, v[12:13], off
	global_load_ushort v3, v[10:11], off
	v_lshl_add_u64 v[8:9], v[8:9], 0, s[6:7]
	global_load_ushort v5, v[8:9], off
	s_waitcnt vmcnt(1)
	v_add_f16_e32 v1, v1, v3
	s_waitcnt vmcnt(0)
	v_add_f16_e32 v1, v1, v5
	v_cvt_f32_f16_e32 v3, v1
	v_add_f32_e32 v7, v7, v3
.LBB11_3:
	s_or_b64 exec, exec, s[8:9]
.LBB11_4:
	s_or_b64 exec, exec, s[2:3]
	v_mbcnt_lo_u32_b32 v1, -1, 0
	v_mbcnt_hi_u32_b32 v12, -1, v1
	v_and_b32_e32 v1, 64, v12
	v_add_u32_e32 v13, 64, v1
	v_xor_b32_e32 v1, 32, v12
	v_cmp_lt_i32_e32 vcc, v1, v13
	v_xor_b32_e32 v8, 16, v12
	v_xor_b32_e32 v9, 8, v12
	v_cndmask_b32_e32 v1, v12, v1, vcc
	v_lshlrev_b32_e32 v1, 2, v1
	ds_bpermute_b32 v5, v1, v7
	v_cmp_lt_i32_e32 vcc, v8, v13
	v_xor_b32_e32 v10, 4, v12
	v_xor_b32_e32 v11, 2, v12
	;; [unrolled: 1-line block ×3, first 2 shown]
	s_waitcnt lgkmcnt(0)
	v_add_f32_e32 v7, v7, v5
	v_cndmask_b32_e32 v5, v12, v8, vcc
	v_lshlrev_b32_e32 v5, 2, v5
	ds_bpermute_b32 v8, v5, v7
	v_cmp_lt_i32_e32 vcc, v9, v13
	s_waitcnt lgkmcnt(0)
	v_add_f32_e32 v7, v7, v8
	v_cndmask_b32_e32 v8, v12, v9, vcc
	v_lshlrev_b32_e32 v8, 2, v8
	ds_bpermute_b32 v9, v8, v7
	v_cmp_lt_i32_e32 vcc, v10, v13
	;; [unrolled: 6-line block ×4, first 2 shown]
	s_waitcnt lgkmcnt(0)
	v_add_f32_e32 v10, v7, v10
	v_cndmask_b32_e32 v7, v12, v14, vcc
	v_lshlrev_b32_e32 v12, 2, v7
	ds_bpermute_b32 v13, v12, v10
	v_and_b32_e32 v7, 63, v0
	v_cmp_eq_u32_e64 s[4:5], 0, v7
	v_lshrrev_b32_e32 v14, 4, v0
	s_and_saveexec_b64 s[2:3], s[4:5]
	s_cbranch_execz .LBB11_6
; %bb.5:
	s_waitcnt lgkmcnt(0)
	v_add_f32_e32 v10, v10, v13
	ds_write_b32 v14, v10
.LBB11_6:
	s_or_b64 exec, exec, s[2:3]
	s_waitcnt lgkmcnt(0)
	s_barrier
	s_load_dword s17, s[0:1], 0x3c
	v_mov_b32_e32 v10, 0
	v_lshlrev_b32_e32 v15, 2, v7
	s_waitcnt lgkmcnt(0)
	s_bfe_u32 s2, s17, 0xa0006
	v_cmp_gt_u32_e64 s[6:7], s2, v0
	s_and_saveexec_b64 s[2:3], s[6:7]
; %bb.7:
	ds_read_b32 v10, v15
; %bb.8:
	s_or_b64 exec, exec, s[2:3]
	s_waitcnt lgkmcnt(0)
	ds_bpermute_b32 v7, v1, v10
	v_cvt_f32_i32_e32 v13, s15
	v_cmp_eq_u32_e64 s[8:9], 0, v0
	s_waitcnt lgkmcnt(0)
	v_add_f32_e32 v7, v10, v7
	ds_bpermute_b32 v10, v5, v7
	s_waitcnt lgkmcnt(0)
	v_add_f32_e32 v7, v7, v10
	ds_bpermute_b32 v10, v8, v7
	;; [unrolled: 3-line block ×5, first 2 shown]
	s_and_saveexec_b64 s[2:3], s[8:9]
	s_cbranch_execz .LBB11_10
; %bb.9:
	s_waitcnt lgkmcnt(0)
	v_add_f32_e32 v7, v7, v10
	v_div_scale_f32 v10, s[18:19], v13, v13, v7
	v_rcp_f32_e32 v16, v10
	v_div_scale_f32 v17, vcc, v7, v13, v7
	v_fma_f32 v18, -v10, v16, 1.0
	v_fmac_f32_e32 v16, v18, v16
	v_mul_f32_e32 v18, v17, v16
	v_fma_f32 v19, -v10, v18, v17
	v_fmac_f32_e32 v18, v19, v16
	v_fma_f32 v10, -v10, v18, v17
	v_div_fmas_f32 v10, v10, v16, v18
	v_div_fixup_f32 v7, v10, v13, v7
	v_mov_b32_e32 v10, 0
	ds_write_b32 v10, v7 offset:68
.LBB11_10:
	s_or_b64 exec, exec, s[2:3]
	s_and_b32 s17, 0xffff, s17
	v_mov_b32_e32 v7, 0
	s_waitcnt lgkmcnt(0)
	v_add_u32_e32 v10, s17, v0
	s_barrier
	s_and_saveexec_b64 s[2:3], s[10:11]
	s_cbranch_execz .LBB11_12
; %bb.11:
	v_mov_b32_e32 v0, 0
	ds_read_b32 v0, v0 offset:68
	v_mov_b32_e32 v7, v3
	v_cmp_gt_u32_e32 vcc, s15, v10
	s_waitcnt lgkmcnt(0)
	v_pk_add_f32 v[16:17], v[6:7], v[0:1] op_sel_hi:[1,0] neg_lo:[0,1] neg_hi:[0,1]
	s_nop 0
	v_pk_mul_f32 v[16:17], v[16:17], v[16:17]
	s_nop 0
	v_add_f32_e32 v0, v16, v17
	v_cndmask_b32_e32 v7, v16, v0, vcc
.LBB11_12:
	s_or_b64 exec, exec, s[2:3]
	ds_bpermute_b32 v0, v1, v7
	s_waitcnt lgkmcnt(0)
	v_add_f32_e32 v0, v7, v0
	ds_bpermute_b32 v7, v5, v0
	s_waitcnt lgkmcnt(0)
	v_add_f32_e32 v0, v0, v7
	;; [unrolled: 3-line block ×5, first 2 shown]
	ds_bpermute_b32 v7, v12, v0
	s_and_saveexec_b64 s[2:3], s[4:5]
	s_cbranch_execz .LBB11_14
; %bb.13:
	s_waitcnt lgkmcnt(0)
	v_add_f32_e32 v0, v0, v7
	ds_write_b32 v14, v0
.LBB11_14:
	s_or_b64 exec, exec, s[2:3]
	v_mov_b32_e32 v0, 0
	s_waitcnt lgkmcnt(0)
	s_barrier
	s_and_saveexec_b64 s[2:3], s[6:7]
; %bb.15:
	ds_read_b32 v0, v15
; %bb.16:
	s_or_b64 exec, exec, s[2:3]
	s_waitcnt lgkmcnt(0)
	ds_bpermute_b32 v1, v1, v0
	s_waitcnt lgkmcnt(0)
	v_add_f32_e32 v0, v0, v1
	ds_bpermute_b32 v1, v5, v0
	s_waitcnt lgkmcnt(0)
	v_add_f32_e32 v0, v0, v1
	;; [unrolled: 3-line block ×5, first 2 shown]
	ds_bpermute_b32 v1, v12, v0
	s_and_saveexec_b64 s[2:3], s[8:9]
	s_cbranch_execz .LBB11_18
; %bb.17:
	s_waitcnt lgkmcnt(0)
	v_add_f32_e32 v0, v0, v1
	v_div_scale_f32 v1, s[4:5], v13, v13, v0
	v_rcp_f32_e32 v5, v1
	v_div_scale_f32 v7, vcc, v0, v13, v0
	v_fma_f32 v8, -v1, v5, 1.0
	v_fmac_f32_e32 v5, v8, v5
	v_mul_f32_e32 v8, v7, v5
	v_fma_f32 v9, -v1, v8, v7
	v_fmac_f32_e32 v8, v9, v5
	v_fma_f32 v1, -v1, v8, v7
	v_div_fmas_f32 v1, v1, v5, v8
	v_div_fixup_f32 v0, v1, v13, v0
	v_add_f32_e32 v0, s14, v0
	v_mov_b32_e32 v1, 0
	ds_write_b32 v1, v0 offset:64
.LBB11_18:
	s_or_b64 exec, exec, s[2:3]
	s_waitcnt lgkmcnt(0)
	s_barrier
	s_and_saveexec_b64 s[2:3], s[10:11]
	s_cbranch_execz .LBB11_21
; %bb.19:
	s_load_dwordx4 s[4:7], s[0:1], 0x18
	v_mov_b32_e32 v1, 0
	s_mov_b32 s0, 0x800000
	s_waitcnt lgkmcnt(0)
	global_load_ushort v5, v4, s[4:5]
	global_load_ushort v7, v4, s[6:7]
	ds_read_b64 v[8:9], v1 offset:64
	s_waitcnt lgkmcnt(0)
	v_mul_f32_e32 v0, 0x4b800000, v8
	v_cmp_gt_f32_e32 vcc, s0, v8
	s_nop 1
	v_cndmask_b32_e32 v0, v8, v0, vcc
	v_rsq_f32_e32 v8, v0
	v_mov_b32_e32 v0, v2
	v_lshl_add_u64 v[12:13], v[0:1], 1, s[12:13]
	v_sub_f32_e32 v0, v6, v9
	v_mul_f32_e32 v2, 0x45800000, v8
	v_cndmask_b32_e32 v2, v8, v2, vcc
	v_mul_f32_e32 v0, v0, v2
	v_cmp_gt_u32_e32 vcc, s15, v10
	s_waitcnt vmcnt(0)
	v_fma_mixlo_f16 v0, v0, v5, v7 op_sel_hi:[0,1,1]
	global_store_short v[12:13], v0, off
	s_and_b64 exec, exec, vcc
	s_cbranch_execz .LBB11_21
; %bb.20:
	v_mov_b32_e32 v5, v1
	v_lshl_add_u64 v[6:7], s[4:5], 0, v[4:5]
	v_lshl_add_u64 v[4:5], s[6:7], 0, v[4:5]
	s_lshl_b32 s0, s17, 1
	s_mov_b32 s1, 0
	v_lshl_add_u64 v[6:7], v[6:7], 0, s[0:1]
	v_lshl_add_u64 v[4:5], v[4:5], 0, s[0:1]
	global_load_ushort v6, v[6:7], off
	v_sub_f32_e32 v3, v3, v9
	global_load_ushort v4, v[4:5], off
	v_add_u32_e32 v0, s16, v10
	v_mul_f32_e32 v2, v3, v2
	v_lshl_add_u64 v[0:1], v[0:1], 1, s[12:13]
	s_waitcnt vmcnt(0)
	v_fma_mixlo_f16 v2, v2, v6, v4 op_sel_hi:[0,1,1]
	global_store_short v[0:1], v2, off
.LBB11_21:
	s_endpgm
	.section	.rodata,"a",@progbits
	.p2align	6, 0x0
	.amdhsa_kernel _Z28addBiasResidualPostLayerNormI6__halfLi2ELi64EEvPT_PKS1_S4_S4_S4_fi
		.amdhsa_group_segment_fixed_size 72
		.amdhsa_private_segment_fixed_size 0
		.amdhsa_kernarg_size 304
		.amdhsa_user_sgpr_count 2
		.amdhsa_user_sgpr_dispatch_ptr 0
		.amdhsa_user_sgpr_queue_ptr 0
		.amdhsa_user_sgpr_kernarg_segment_ptr 1
		.amdhsa_user_sgpr_dispatch_id 0
		.amdhsa_user_sgpr_kernarg_preload_length 0
		.amdhsa_user_sgpr_kernarg_preload_offset 0
		.amdhsa_user_sgpr_private_segment_size 0
		.amdhsa_uses_dynamic_stack 0
		.amdhsa_enable_private_segment 0
		.amdhsa_system_sgpr_workgroup_id_x 1
		.amdhsa_system_sgpr_workgroup_id_y 0
		.amdhsa_system_sgpr_workgroup_id_z 0
		.amdhsa_system_sgpr_workgroup_info 0
		.amdhsa_system_vgpr_workitem_id 0
		.amdhsa_next_free_vgpr 20
		.amdhsa_next_free_sgpr 20
		.amdhsa_accum_offset 20
		.amdhsa_reserve_vcc 1
		.amdhsa_float_round_mode_32 0
		.amdhsa_float_round_mode_16_64 0
		.amdhsa_float_denorm_mode_32 3
		.amdhsa_float_denorm_mode_16_64 3
		.amdhsa_dx10_clamp 1
		.amdhsa_ieee_mode 1
		.amdhsa_fp16_overflow 0
		.amdhsa_tg_split 0
		.amdhsa_exception_fp_ieee_invalid_op 0
		.amdhsa_exception_fp_denorm_src 0
		.amdhsa_exception_fp_ieee_div_zero 0
		.amdhsa_exception_fp_ieee_overflow 0
		.amdhsa_exception_fp_ieee_underflow 0
		.amdhsa_exception_fp_ieee_inexact 0
		.amdhsa_exception_int_div_zero 0
	.end_amdhsa_kernel
	.section	.text._Z28addBiasResidualPostLayerNormI6__halfLi2ELi64EEvPT_PKS1_S4_S4_S4_fi,"axG",@progbits,_Z28addBiasResidualPostLayerNormI6__halfLi2ELi64EEvPT_PKS1_S4_S4_S4_fi,comdat
.Lfunc_end11:
	.size	_Z28addBiasResidualPostLayerNormI6__halfLi2ELi64EEvPT_PKS1_S4_S4_S4_fi, .Lfunc_end11-_Z28addBiasResidualPostLayerNormI6__halfLi2ELi64EEvPT_PKS1_S4_S4_S4_fi
                                        ; -- End function
	.set _Z28addBiasResidualPostLayerNormI6__halfLi2ELi64EEvPT_PKS1_S4_S4_S4_fi.num_vgpr, 20
	.set _Z28addBiasResidualPostLayerNormI6__halfLi2ELi64EEvPT_PKS1_S4_S4_S4_fi.num_agpr, 0
	.set _Z28addBiasResidualPostLayerNormI6__halfLi2ELi64EEvPT_PKS1_S4_S4_S4_fi.numbered_sgpr, 20
	.set _Z28addBiasResidualPostLayerNormI6__halfLi2ELi64EEvPT_PKS1_S4_S4_S4_fi.num_named_barrier, 0
	.set _Z28addBiasResidualPostLayerNormI6__halfLi2ELi64EEvPT_PKS1_S4_S4_S4_fi.private_seg_size, 0
	.set _Z28addBiasResidualPostLayerNormI6__halfLi2ELi64EEvPT_PKS1_S4_S4_S4_fi.uses_vcc, 1
	.set _Z28addBiasResidualPostLayerNormI6__halfLi2ELi64EEvPT_PKS1_S4_S4_S4_fi.uses_flat_scratch, 0
	.set _Z28addBiasResidualPostLayerNormI6__halfLi2ELi64EEvPT_PKS1_S4_S4_S4_fi.has_dyn_sized_stack, 0
	.set _Z28addBiasResidualPostLayerNormI6__halfLi2ELi64EEvPT_PKS1_S4_S4_S4_fi.has_recursion, 0
	.set _Z28addBiasResidualPostLayerNormI6__halfLi2ELi64EEvPT_PKS1_S4_S4_S4_fi.has_indirect_call, 0
	.section	.AMDGPU.csdata,"",@progbits
; Kernel info:
; codeLenInByte = 1512
; TotalNumSgprs: 26
; NumVgprs: 20
; NumAgprs: 0
; TotalNumVgprs: 20
; ScratchSize: 0
; MemoryBound: 0
; FloatMode: 240
; IeeeMode: 1
; LDSByteSize: 72 bytes/workgroup (compile time only)
; SGPRBlocks: 3
; VGPRBlocks: 2
; NumSGPRsForWavesPerEU: 26
; NumVGPRsForWavesPerEU: 20
; AccumOffset: 20
; Occupancy: 8
; WaveLimiterHint : 0
; COMPUTE_PGM_RSRC2:SCRATCH_EN: 0
; COMPUTE_PGM_RSRC2:USER_SGPR: 2
; COMPUTE_PGM_RSRC2:TRAP_HANDLER: 0
; COMPUTE_PGM_RSRC2:TGID_X_EN: 1
; COMPUTE_PGM_RSRC2:TGID_Y_EN: 0
; COMPUTE_PGM_RSRC2:TGID_Z_EN: 0
; COMPUTE_PGM_RSRC2:TIDIG_COMP_CNT: 0
; COMPUTE_PGM_RSRC3_GFX90A:ACCUM_OFFSET: 4
; COMPUTE_PGM_RSRC3_GFX90A:TG_SPLIT: 0
	.section	.text._Z35generalAddBiasResidualPostLayerNormI6__halfLi64EEvPT_PKS1_S4_S4_S4_fi,"axG",@progbits,_Z35generalAddBiasResidualPostLayerNormI6__halfLi64EEvPT_PKS1_S4_S4_S4_fi,comdat
	.protected	_Z35generalAddBiasResidualPostLayerNormI6__halfLi64EEvPT_PKS1_S4_S4_S4_fi ; -- Begin function _Z35generalAddBiasResidualPostLayerNormI6__halfLi64EEvPT_PKS1_S4_S4_S4_fi
	.globl	_Z35generalAddBiasResidualPostLayerNormI6__halfLi64EEvPT_PKS1_S4_S4_S4_fi
	.p2align	8
	.type	_Z35generalAddBiasResidualPostLayerNormI6__halfLi64EEvPT_PKS1_S4_S4_S4_fi,@function
_Z35generalAddBiasResidualPostLayerNormI6__halfLi64EEvPT_PKS1_S4_S4_S4_fi: ; @_Z35generalAddBiasResidualPostLayerNormI6__halfLi64EEvPT_PKS1_S4_S4_S4_fi
; %bb.0:
	s_load_dwordx2 s[16:17], s[0:1], 0x28
	s_load_dwordx2 s[10:11], s[0:1], 0x0
	v_mov_b32_e32 v3, 0
	v_lshlrev_b32_e32 v2, 2, v0
	s_waitcnt lgkmcnt(0)
	s_lshr_b32 s3, s17, 31
	s_add_i32 s3, s17, s3
	s_ashr_i32 s20, s3, 1
	v_cmp_gt_i32_e64 s[8:9], s20, v0
	s_mul_i32 s21, s17, s2
	s_and_saveexec_b64 s[2:3], s[8:9]
	s_cbranch_execz .LBB12_4
; %bb.1:
	s_load_dword s12, s[0:1], 0x3c
	s_load_dwordx4 s[4:7], s[0:1], 0x8
	v_mov_b32_e32 v3, 0
	s_lshr_b32 s14, s21, 1
	s_mov_b32 s13, 0
	s_waitcnt lgkmcnt(0)
	s_and_b32 s15, s12, 0xffff
	v_lshl_add_u64 v[4:5], s[6:7], 0, v[2:3]
	s_lshl_b32 s12, s15, 2
	s_mov_b64 s[6:7], 0
	v_mov_b32_e32 v1, v0
.LBB12_2:                               ; =>This Inner Loop Header: Depth=1
	v_add_u32_e32 v6, s14, v1
	v_ashrrev_i32_e32 v7, 31, v6
	v_lshlrev_b64 v[6:7], 2, v[6:7]
	v_lshl_add_u64 v[8:9], s[10:11], 0, v[6:7]
	v_lshl_add_u64 v[6:7], s[4:5], 0, v[6:7]
	global_load_dword v10, v[8:9], off
	global_load_dword v11, v[6:7], off
	global_load_dword v12, v[4:5], off
	v_add_u32_e32 v1, s15, v1
	v_cmp_le_i32_e32 vcc, s20, v1
	v_lshl_add_u64 v[4:5], v[4:5], 0, s[12:13]
	s_or_b64 s[6:7], vcc, s[6:7]
	s_waitcnt vmcnt(1)
	v_pk_add_f16 v6, v10, v11
	s_waitcnt vmcnt(0)
	v_pk_add_f16 v6, v6, v12
	global_store_dword v[8:9], v6, off
	v_cvt_f32_f16_e32 v7, v6
	v_cvt_f32_f16_sdwa v10, v6 dst_sel:DWORD dst_unused:UNUSED_PAD src0_sel:WORD_1
	v_add_f32_e32 v3, v3, v7
	v_add_f32_e32 v3, v3, v10
	s_andn2_b64 exec, exec, s[6:7]
	s_cbranch_execnz .LBB12_2
; %bb.3:
	s_or_b64 exec, exec, s[6:7]
.LBB12_4:
	s_or_b64 exec, exec, s[2:3]
	v_mbcnt_lo_u32_b32 v1, -1, 0
	v_mbcnt_hi_u32_b32 v4, -1, v1
	v_and_b32_e32 v1, 64, v4
	v_add_u32_e32 v9, 64, v1
	v_xor_b32_e32 v1, 32, v4
	v_cmp_lt_i32_e32 vcc, v1, v9
	v_xor_b32_e32 v6, 16, v4
	v_xor_b32_e32 v7, 8, v4
	v_cndmask_b32_e32 v1, v4, v1, vcc
	v_lshlrev_b32_e32 v1, 2, v1
	ds_bpermute_b32 v5, v1, v3
	v_cmp_lt_i32_e32 vcc, v6, v9
	v_xor_b32_e32 v8, 4, v4
	v_xor_b32_e32 v10, 2, v4
	;; [unrolled: 1-line block ×3, first 2 shown]
	s_waitcnt lgkmcnt(0)
	v_add_f32_e32 v5, v3, v5
	v_cndmask_b32_e32 v3, v4, v6, vcc
	v_lshlrev_b32_e32 v3, 2, v3
	ds_bpermute_b32 v6, v3, v5
	v_cmp_lt_i32_e32 vcc, v7, v9
	s_load_dwordx4 s[12:15], s[0:1], 0x18
	s_waitcnt lgkmcnt(0)
	v_add_f32_e32 v5, v5, v6
	v_cndmask_b32_e32 v6, v4, v7, vcc
	v_lshlrev_b32_e32 v6, 2, v6
	ds_bpermute_b32 v7, v6, v5
	v_cmp_lt_i32_e32 vcc, v8, v9
	s_waitcnt lgkmcnt(0)
	v_add_f32_e32 v5, v5, v7
	v_cndmask_b32_e32 v7, v4, v8, vcc
	v_lshlrev_b32_e32 v7, 2, v7
	ds_bpermute_b32 v8, v7, v5
	v_cmp_lt_i32_e32 vcc, v10, v9
	;; [unrolled: 6-line block ×3, first 2 shown]
	s_waitcnt lgkmcnt(0)
	v_add_f32_e32 v5, v5, v10
	v_cndmask_b32_e32 v4, v4, v11, vcc
	v_lshlrev_b32_e32 v9, 2, v4
	ds_bpermute_b32 v10, v9, v5
	v_and_b32_e32 v4, 63, v0
	v_cmp_eq_u32_e64 s[4:5], 0, v4
	v_lshrrev_b32_e32 v11, 4, v0
	s_and_saveexec_b64 s[2:3], s[4:5]
	s_cbranch_execz .LBB12_6
; %bb.5:
	s_waitcnt lgkmcnt(0)
	v_add_f32_e32 v5, v5, v10
	ds_write_b32 v11, v5
.LBB12_6:
	s_or_b64 exec, exec, s[2:3]
	s_waitcnt lgkmcnt(0)
	s_barrier
	s_load_dword s18, s[0:1], 0x3c
	v_mov_b32_e32 v5, 0
	v_lshlrev_b32_e32 v12, 2, v4
	s_waitcnt lgkmcnt(0)
	s_bfe_u32 s0, s18, 0xa0006
	v_cmp_gt_u32_e64 s[0:1], s0, v0
	s_and_saveexec_b64 s[2:3], s[0:1]
; %bb.7:
	ds_read_b32 v5, v12
; %bb.8:
	s_or_b64 exec, exec, s[2:3]
	s_waitcnt lgkmcnt(0)
	ds_bpermute_b32 v4, v1, v5
	v_cvt_f32_i32_e32 v10, s17
	v_cmp_eq_u32_e64 s[6:7], 0, v0
	s_waitcnt lgkmcnt(0)
	v_add_f32_e32 v4, v5, v4
	ds_bpermute_b32 v5, v3, v4
	s_waitcnt lgkmcnt(0)
	v_add_f32_e32 v4, v4, v5
	ds_bpermute_b32 v5, v6, v4
	;; [unrolled: 3-line block ×5, first 2 shown]
	s_and_saveexec_b64 s[2:3], s[6:7]
	s_cbranch_execz .LBB12_10
; %bb.9:
	s_waitcnt lgkmcnt(0)
	v_add_f32_e32 v4, v4, v5
	v_div_scale_f32 v5, s[22:23], v10, v10, v4
	v_rcp_f32_e32 v13, v5
	v_div_scale_f32 v14, vcc, v4, v10, v4
	v_fma_f32 v15, -v5, v13, 1.0
	v_fmac_f32_e32 v13, v15, v13
	v_mul_f32_e32 v15, v14, v13
	v_fma_f32 v16, -v5, v15, v14
	v_fmac_f32_e32 v15, v16, v13
	v_fma_f32 v5, -v5, v15, v14
	v_div_fmas_f32 v5, v5, v13, v15
	v_div_fixup_f32 v4, v5, v10, v4
	v_mov_b32_e32 v5, 0
	ds_write_b32 v5, v4 offset:68
.LBB12_10:
	s_or_b64 exec, exec, s[2:3]
	s_and_b32 s17, 0xffff, s18
	v_mov_b32_e32 v13, 0
	s_waitcnt lgkmcnt(0)
	s_barrier
	s_and_saveexec_b64 s[2:3], s[8:9]
	s_cbranch_execz .LBB12_14
; %bb.11:
	v_mov_b32_e32 v13, 0
	ds_read_b32 v4, v13 offset:68
	s_lshr_b32 s22, s21, 1
	s_mov_b64 s[18:19], 0
	v_mov_b32_e32 v14, v0
	s_waitcnt lgkmcnt(0)
	v_mov_b32_e32 v5, v4
.LBB12_12:                              ; =>This Inner Loop Header: Depth=1
	v_add_u32_e32 v16, s22, v14
	v_ashrrev_i32_e32 v17, 31, v16
	v_lshl_add_u64 v[16:17], v[16:17], 2, s[10:11]
	global_load_dword v15, v[16:17], off
	v_add_u32_e32 v14, s17, v14
	v_cmp_le_i32_e32 vcc, s20, v14
	s_or_b64 s[18:19], vcc, s[18:19]
	s_waitcnt vmcnt(0)
	v_cvt_f32_f16_e32 v16, v15
	v_cvt_f32_f16_sdwa v17, v15 dst_sel:DWORD dst_unused:UNUSED_PAD src0_sel:WORD_1
	v_pk_add_f32 v[16:17], v[16:17], v[4:5] neg_lo:[0,1] neg_hi:[0,1]
	s_nop 0
	v_pk_mul_f32 v[16:17], v[16:17], v[16:17]
	s_nop 0
	v_add_f32_e32 v13, v13, v16
	v_add_f32_e32 v13, v13, v17
	s_andn2_b64 exec, exec, s[18:19]
	s_cbranch_execnz .LBB12_12
; %bb.13:
	s_or_b64 exec, exec, s[18:19]
.LBB12_14:
	s_or_b64 exec, exec, s[2:3]
	ds_bpermute_b32 v4, v1, v13
	s_waitcnt lgkmcnt(0)
	v_add_f32_e32 v4, v13, v4
	ds_bpermute_b32 v5, v3, v4
	s_waitcnt lgkmcnt(0)
	v_add_f32_e32 v4, v4, v5
	;; [unrolled: 3-line block ×5, first 2 shown]
	ds_bpermute_b32 v5, v9, v4
	s_and_saveexec_b64 s[2:3], s[4:5]
	s_cbranch_execz .LBB12_16
; %bb.15:
	s_waitcnt lgkmcnt(0)
	v_add_f32_e32 v4, v4, v5
	ds_write_b32 v11, v4
.LBB12_16:
	s_or_b64 exec, exec, s[2:3]
	v_mov_b32_e32 v4, 0
	s_waitcnt lgkmcnt(0)
	s_barrier
	s_and_saveexec_b64 s[2:3], s[0:1]
; %bb.17:
	ds_read_b32 v4, v12
; %bb.18:
	s_or_b64 exec, exec, s[2:3]
	s_waitcnt lgkmcnt(0)
	ds_bpermute_b32 v1, v1, v4
	s_waitcnt lgkmcnt(0)
	v_add_f32_e32 v1, v4, v1
	ds_bpermute_b32 v3, v3, v1
	s_waitcnt lgkmcnt(0)
	v_add_f32_e32 v1, v1, v3
	;; [unrolled: 3-line block ×5, first 2 shown]
	ds_bpermute_b32 v3, v9, v1
	s_and_saveexec_b64 s[0:1], s[6:7]
	s_cbranch_execz .LBB12_20
; %bb.19:
	s_waitcnt lgkmcnt(0)
	v_add_f32_e32 v1, v1, v3
	v_div_scale_f32 v3, s[2:3], v10, v10, v1
	v_rcp_f32_e32 v4, v3
	v_div_scale_f32 v5, vcc, v1, v10, v1
	s_mov_b32 s2, 0x800000
	v_fma_f32 v6, -v3, v4, 1.0
	v_fmac_f32_e32 v4, v6, v4
	v_mul_f32_e32 v6, v5, v4
	v_fma_f32 v7, -v3, v6, v5
	v_fmac_f32_e32 v6, v7, v4
	v_fma_f32 v3, -v3, v6, v5
	v_div_fmas_f32 v3, v3, v4, v6
	v_div_fixup_f32 v1, v3, v10, v1
	v_add_f32_e32 v1, s16, v1
	v_mul_f32_e32 v3, 0x4b800000, v1
	v_cmp_gt_f32_e32 vcc, s2, v1
	s_nop 1
	v_cndmask_b32_e32 v1, v1, v3, vcc
	v_rsq_f32_e32 v1, v1
	s_nop 0
	v_mul_f32_e32 v3, 0x45800000, v1
	v_cndmask_b32_e32 v1, v1, v3, vcc
	v_mov_b32_e32 v3, 0
	ds_write_b32 v3, v1 offset:64
.LBB12_20:
	s_or_b64 exec, exec, s[0:1]
	s_waitcnt lgkmcnt(0)
	s_barrier
	s_and_saveexec_b64 s[0:1], s[8:9]
	s_cbranch_execz .LBB12_23
; %bb.21:
	v_mov_b32_e32 v3, 0
	ds_read_b64 v[4:5], v3 offset:64
	s_lshr_b32 s4, s21, 1
	s_mov_b32 s1, 0
	s_lshl_b32 s0, s17, 2
	s_mov_b64 s[2:3], 0
	s_waitcnt lgkmcnt(0)
	v_mov_b32_e32 v6, v5
	v_mov_b32_e32 v7, v5
	;; [unrolled: 1-line block ×3, first 2 shown]
.LBB12_22:                              ; =>This Inner Loop Header: Depth=1
	v_add_u32_e32 v8, s4, v0
	v_ashrrev_i32_e32 v9, 31, v8
	v_lshl_add_u64 v[10:11], s[12:13], 0, v[2:3]
	v_lshl_add_u64 v[8:9], v[8:9], 2, s[10:11]
	;; [unrolled: 1-line block ×3, first 2 shown]
	global_load_dword v1, v[10:11], off
	global_load_dword v14, v[8:9], off
	;; [unrolled: 1-line block ×3, first 2 shown]
	v_add_u32_e32 v0, s17, v0
	v_cmp_le_i32_e32 vcc, s20, v0
	v_lshl_add_u64 v[2:3], v[2:3], 0, s[0:1]
	s_or_b64 s[2:3], vcc, s[2:3]
	s_waitcnt vmcnt(2)
	v_cvt_f32_f16_e32 v10, v1
	s_waitcnt vmcnt(1)
	v_cvt_f32_f16_e32 v12, v14
	v_cvt_f32_f16_sdwa v13, v14 dst_sel:DWORD dst_unused:UNUSED_PAD src0_sel:WORD_1
	v_cvt_f32_f16_sdwa v11, v1 dst_sel:DWORD dst_unused:UNUSED_PAD src0_sel:WORD_1
	s_waitcnt vmcnt(0)
	v_cvt_f32_f16_e32 v14, v15
	v_cvt_f32_f16_sdwa v15, v15 dst_sel:DWORD dst_unused:UNUSED_PAD src0_sel:WORD_1
	v_pk_add_f32 v[12:13], v[12:13], v[6:7] neg_lo:[0,1] neg_hi:[0,1]
	s_nop 0
	v_pk_mul_f32 v[12:13], v[12:13], v[4:5]
	s_nop 0
	v_pk_fma_f32 v[10:11], v[12:13], v[10:11], v[14:15]
	s_nop 0
	v_cvt_pk_f16_f32 v1, v10, v11
	global_store_dword v[8:9], v1, off
	s_andn2_b64 exec, exec, s[2:3]
	s_cbranch_execnz .LBB12_22
.LBB12_23:
	s_endpgm
	.section	.rodata,"a",@progbits
	.p2align	6, 0x0
	.amdhsa_kernel _Z35generalAddBiasResidualPostLayerNormI6__halfLi64EEvPT_PKS1_S4_S4_S4_fi
		.amdhsa_group_segment_fixed_size 72
		.amdhsa_private_segment_fixed_size 0
		.amdhsa_kernarg_size 304
		.amdhsa_user_sgpr_count 2
		.amdhsa_user_sgpr_dispatch_ptr 0
		.amdhsa_user_sgpr_queue_ptr 0
		.amdhsa_user_sgpr_kernarg_segment_ptr 1
		.amdhsa_user_sgpr_dispatch_id 0
		.amdhsa_user_sgpr_kernarg_preload_length 0
		.amdhsa_user_sgpr_kernarg_preload_offset 0
		.amdhsa_user_sgpr_private_segment_size 0
		.amdhsa_uses_dynamic_stack 0
		.amdhsa_enable_private_segment 0
		.amdhsa_system_sgpr_workgroup_id_x 1
		.amdhsa_system_sgpr_workgroup_id_y 0
		.amdhsa_system_sgpr_workgroup_id_z 0
		.amdhsa_system_sgpr_workgroup_info 0
		.amdhsa_system_vgpr_workitem_id 0
		.amdhsa_next_free_vgpr 18
		.amdhsa_next_free_sgpr 24
		.amdhsa_accum_offset 20
		.amdhsa_reserve_vcc 1
		.amdhsa_float_round_mode_32 0
		.amdhsa_float_round_mode_16_64 0
		.amdhsa_float_denorm_mode_32 3
		.amdhsa_float_denorm_mode_16_64 3
		.amdhsa_dx10_clamp 1
		.amdhsa_ieee_mode 1
		.amdhsa_fp16_overflow 0
		.amdhsa_tg_split 0
		.amdhsa_exception_fp_ieee_invalid_op 0
		.amdhsa_exception_fp_denorm_src 0
		.amdhsa_exception_fp_ieee_div_zero 0
		.amdhsa_exception_fp_ieee_overflow 0
		.amdhsa_exception_fp_ieee_underflow 0
		.amdhsa_exception_fp_ieee_inexact 0
		.amdhsa_exception_int_div_zero 0
	.end_amdhsa_kernel
	.section	.text._Z35generalAddBiasResidualPostLayerNormI6__halfLi64EEvPT_PKS1_S4_S4_S4_fi,"axG",@progbits,_Z35generalAddBiasResidualPostLayerNormI6__halfLi64EEvPT_PKS1_S4_S4_S4_fi,comdat
.Lfunc_end12:
	.size	_Z35generalAddBiasResidualPostLayerNormI6__halfLi64EEvPT_PKS1_S4_S4_S4_fi, .Lfunc_end12-_Z35generalAddBiasResidualPostLayerNormI6__halfLi64EEvPT_PKS1_S4_S4_S4_fi
                                        ; -- End function
	.set _Z35generalAddBiasResidualPostLayerNormI6__halfLi64EEvPT_PKS1_S4_S4_S4_fi.num_vgpr, 18
	.set _Z35generalAddBiasResidualPostLayerNormI6__halfLi64EEvPT_PKS1_S4_S4_S4_fi.num_agpr, 0
	.set _Z35generalAddBiasResidualPostLayerNormI6__halfLi64EEvPT_PKS1_S4_S4_S4_fi.numbered_sgpr, 24
	.set _Z35generalAddBiasResidualPostLayerNormI6__halfLi64EEvPT_PKS1_S4_S4_S4_fi.num_named_barrier, 0
	.set _Z35generalAddBiasResidualPostLayerNormI6__halfLi64EEvPT_PKS1_S4_S4_S4_fi.private_seg_size, 0
	.set _Z35generalAddBiasResidualPostLayerNormI6__halfLi64EEvPT_PKS1_S4_S4_S4_fi.uses_vcc, 1
	.set _Z35generalAddBiasResidualPostLayerNormI6__halfLi64EEvPT_PKS1_S4_S4_S4_fi.uses_flat_scratch, 0
	.set _Z35generalAddBiasResidualPostLayerNormI6__halfLi64EEvPT_PKS1_S4_S4_S4_fi.has_dyn_sized_stack, 0
	.set _Z35generalAddBiasResidualPostLayerNormI6__halfLi64EEvPT_PKS1_S4_S4_S4_fi.has_recursion, 0
	.set _Z35generalAddBiasResidualPostLayerNormI6__halfLi64EEvPT_PKS1_S4_S4_S4_fi.has_indirect_call, 0
	.section	.AMDGPU.csdata,"",@progbits
; Kernel info:
; codeLenInByte = 1592
; TotalNumSgprs: 30
; NumVgprs: 18
; NumAgprs: 0
; TotalNumVgprs: 18
; ScratchSize: 0
; MemoryBound: 0
; FloatMode: 240
; IeeeMode: 1
; LDSByteSize: 72 bytes/workgroup (compile time only)
; SGPRBlocks: 3
; VGPRBlocks: 2
; NumSGPRsForWavesPerEU: 30
; NumVGPRsForWavesPerEU: 18
; AccumOffset: 20
; Occupancy: 8
; WaveLimiterHint : 0
; COMPUTE_PGM_RSRC2:SCRATCH_EN: 0
; COMPUTE_PGM_RSRC2:USER_SGPR: 2
; COMPUTE_PGM_RSRC2:TRAP_HANDLER: 0
; COMPUTE_PGM_RSRC2:TGID_X_EN: 1
; COMPUTE_PGM_RSRC2:TGID_Y_EN: 0
; COMPUTE_PGM_RSRC2:TGID_Z_EN: 0
; COMPUTE_PGM_RSRC2:TIDIG_COMP_CNT: 0
; COMPUTE_PGM_RSRC3_GFX90A:ACCUM_OFFSET: 4
; COMPUTE_PGM_RSRC3_GFX90A:TG_SPLIT: 0
	.section	.text._Z28addBiasResidualPostLayerNormI6__halfLi1ELi32EEvPT_PKS1_S4_S4_S4_fi,"axG",@progbits,_Z28addBiasResidualPostLayerNormI6__halfLi1ELi32EEvPT_PKS1_S4_S4_S4_fi,comdat
	.protected	_Z28addBiasResidualPostLayerNormI6__halfLi1ELi32EEvPT_PKS1_S4_S4_S4_fi ; -- Begin function _Z28addBiasResidualPostLayerNormI6__halfLi1ELi32EEvPT_PKS1_S4_S4_S4_fi
	.globl	_Z28addBiasResidualPostLayerNormI6__halfLi1ELi32EEvPT_PKS1_S4_S4_S4_fi
	.p2align	8
	.type	_Z28addBiasResidualPostLayerNormI6__halfLi1ELi32EEvPT_PKS1_S4_S4_S4_fi,@function
_Z28addBiasResidualPostLayerNormI6__halfLi1ELi32EEvPT_PKS1_S4_S4_S4_fi: ; @_Z28addBiasResidualPostLayerNormI6__halfLi1ELi32EEvPT_PKS1_S4_S4_S4_fi
; %bb.0:
	s_load_dwordx2 s[14:15], s[0:1], 0x28
	s_load_dwordx2 s[12:13], s[0:1], 0x0
	v_mov_b32_e32 v5, 0
	v_lshlrev_b32_e32 v1, 1, v0
                                        ; implicit-def: $vgpr4
	s_waitcnt lgkmcnt(0)
	s_mul_i32 s2, s15, s2
	v_cmp_gt_i32_e64 s[10:11], s15, v0
	v_add_u32_e32 v2, s2, v0
	s_and_saveexec_b64 s[2:3], s[10:11]
	s_cbranch_execz .LBB13_2
; %bb.1:
	s_load_dwordx4 s[4:7], s[0:1], 0x8
	v_mov_b32_e32 v3, 0
	v_lshlrev_b64 v[4:5], 1, v[2:3]
	v_lshl_add_u64 v[6:7], s[12:13], 0, v[4:5]
	global_load_ushort v3, v[6:7], off
	s_waitcnt lgkmcnt(0)
	v_lshl_add_u64 v[4:5], s[4:5], 0, v[4:5]
	global_load_ushort v6, v[4:5], off
	global_load_ushort v7, v1, s[6:7]
	s_waitcnt vmcnt(1)
	v_add_f16_e32 v3, v3, v6
	s_waitcnt vmcnt(0)
	v_add_f16_e32 v3, v3, v7
	v_cvt_f32_f16_e32 v4, v3
	v_add_f32_e32 v5, 0, v4
.LBB13_2:
	s_or_b64 exec, exec, s[2:3]
	v_mbcnt_lo_u32_b32 v3, -1, 0
	v_mbcnt_hi_u32_b32 v8, -1, v3
	v_and_b32_e32 v3, 0x60, v8
	v_add_u32_e32 v9, 32, v3
	v_xor_b32_e32 v3, 16, v8
	v_cmp_lt_i32_e32 vcc, v3, v9
	v_xor_b32_e32 v7, 8, v8
	v_xor_b32_e32 v10, 4, v8
	v_cndmask_b32_e32 v3, v8, v3, vcc
	v_lshlrev_b32_e32 v3, 2, v3
	ds_bpermute_b32 v6, v3, v5
	v_cmp_lt_i32_e32 vcc, v7, v9
	v_xor_b32_e32 v11, 2, v8
	v_xor_b32_e32 v12, 1, v8
	s_waitcnt lgkmcnt(0)
	v_add_f32_e32 v6, v5, v6
	v_cndmask_b32_e32 v5, v8, v7, vcc
	v_lshlrev_b32_e32 v5, 2, v5
	ds_bpermute_b32 v7, v5, v6
	v_cmp_lt_i32_e32 vcc, v10, v9
	s_waitcnt lgkmcnt(0)
	v_add_f32_e32 v7, v6, v7
	v_cndmask_b32_e32 v6, v8, v10, vcc
	v_lshlrev_b32_e32 v6, 2, v6
	ds_bpermute_b32 v10, v6, v7
	v_cmp_lt_i32_e32 vcc, v11, v9
	;; [unrolled: 6-line block ×3, first 2 shown]
	v_and_b32_e32 v9, 31, v0
	v_cmp_eq_u32_e64 s[4:5], 0, v9
	v_cndmask_b32_e32 v8, v8, v12, vcc
	s_waitcnt lgkmcnt(0)
	v_add_f32_e32 v11, v10, v11
	v_lshlrev_b32_e32 v8, 2, v8
	ds_bpermute_b32 v12, v8, v11
	v_lshrrev_b32_e32 v10, 3, v0
	s_and_saveexec_b64 s[2:3], s[4:5]
	s_cbranch_execz .LBB13_4
; %bb.3:
	s_waitcnt lgkmcnt(0)
	v_add_f32_e32 v11, v11, v12
	ds_write_b32 v10, v11
.LBB13_4:
	s_or_b64 exec, exec, s[2:3]
	s_waitcnt lgkmcnt(0)
	s_barrier
	s_load_dword s2, s[0:1], 0x3c
	v_mov_b32_e32 v12, 0
	v_lshlrev_b32_e32 v11, 2, v9
	s_waitcnt lgkmcnt(0)
	s_bfe_u32 s2, s2, 0xb0005
	v_cmp_gt_u32_e64 s[6:7], s2, v0
	s_and_saveexec_b64 s[2:3], s[6:7]
; %bb.5:
	ds_read_b32 v12, v11
; %bb.6:
	s_or_b64 exec, exec, s[2:3]
	s_waitcnt lgkmcnt(0)
	ds_bpermute_b32 v9, v3, v12
	v_cmp_eq_u32_e64 s[8:9], 0, v0
	s_waitcnt lgkmcnt(0)
	v_add_f32_e32 v9, v12, v9
	ds_bpermute_b32 v12, v5, v9
	s_waitcnt lgkmcnt(0)
	v_add_f32_e32 v9, v9, v12
	ds_bpermute_b32 v12, v6, v9
	;; [unrolled: 3-line block ×4, first 2 shown]
	v_cvt_f32_i32_e32 v9, s15
	s_and_saveexec_b64 s[2:3], s[8:9]
	s_cbranch_execz .LBB13_8
; %bb.7:
	s_waitcnt lgkmcnt(0)
	v_add_f32_e32 v0, v12, v13
	v_div_scale_f32 v12, s[16:17], v9, v9, v0
	v_rcp_f32_e32 v13, v12
	v_div_scale_f32 v14, vcc, v0, v9, v0
	v_fma_f32 v15, -v12, v13, 1.0
	v_fmac_f32_e32 v13, v15, v13
	v_mul_f32_e32 v15, v14, v13
	v_fma_f32 v16, -v12, v15, v14
	v_fmac_f32_e32 v15, v16, v13
	v_fma_f32 v12, -v12, v15, v14
	v_div_fmas_f32 v12, v12, v13, v15
	v_div_fixup_f32 v0, v12, v9, v0
	v_mov_b32_e32 v12, 0
	ds_write_b32 v12, v0 offset:132
.LBB13_8:
	s_or_b64 exec, exec, s[2:3]
	v_mov_b32_e32 v0, 0
	s_waitcnt lgkmcnt(0)
	s_barrier
	ds_read_b32 v12, v0 offset:132
	s_waitcnt lgkmcnt(0)
	v_sub_f32_e32 v12, v4, v12
	v_mul_f32_e32 v12, v12, v12
	v_cndmask_b32_e64 v12, 0, v12, s[10:11]
	ds_bpermute_b32 v13, v3, v12
	s_waitcnt lgkmcnt(0)
	v_add_f32_e32 v12, v12, v13
	ds_bpermute_b32 v13, v5, v12
	s_waitcnt lgkmcnt(0)
	v_add_f32_e32 v12, v12, v13
	;; [unrolled: 3-line block ×4, first 2 shown]
	ds_bpermute_b32 v13, v8, v12
	s_and_saveexec_b64 s[2:3], s[4:5]
	s_cbranch_execz .LBB13_10
; %bb.9:
	s_waitcnt lgkmcnt(0)
	v_add_f32_e32 v12, v12, v13
	ds_write_b32 v10, v12
.LBB13_10:
	s_or_b64 exec, exec, s[2:3]
	s_waitcnt lgkmcnt(0)
	s_barrier
	s_and_saveexec_b64 s[2:3], s[6:7]
; %bb.11:
	ds_read_b32 v0, v11
; %bb.12:
	s_or_b64 exec, exec, s[2:3]
	s_waitcnt lgkmcnt(0)
	ds_bpermute_b32 v3, v3, v0
	s_waitcnt lgkmcnt(0)
	v_add_f32_e32 v0, v0, v3
	ds_bpermute_b32 v3, v5, v0
	s_waitcnt lgkmcnt(0)
	v_add_f32_e32 v0, v0, v3
	;; [unrolled: 3-line block ×4, first 2 shown]
	ds_bpermute_b32 v3, v8, v0
	s_and_saveexec_b64 s[2:3], s[8:9]
	s_cbranch_execz .LBB13_14
; %bb.13:
	s_waitcnt lgkmcnt(0)
	v_add_f32_e32 v0, v0, v3
	v_div_scale_f32 v3, s[4:5], v9, v9, v0
	v_rcp_f32_e32 v5, v3
	v_div_scale_f32 v6, vcc, v0, v9, v0
	v_fma_f32 v7, -v3, v5, 1.0
	v_fmac_f32_e32 v5, v7, v5
	v_mul_f32_e32 v7, v6, v5
	v_fma_f32 v8, -v3, v7, v6
	v_fmac_f32_e32 v7, v8, v5
	v_fma_f32 v3, -v3, v7, v6
	v_div_fmas_f32 v3, v3, v5, v7
	v_div_fixup_f32 v0, v3, v9, v0
	v_add_f32_e32 v0, s14, v0
	v_mov_b32_e32 v3, 0
	ds_write_b32 v3, v0 offset:128
.LBB13_14:
	s_or_b64 exec, exec, s[2:3]
	s_waitcnt lgkmcnt(0)
	s_barrier
	s_and_saveexec_b64 s[2:3], s[10:11]
	s_cbranch_execz .LBB13_16
; %bb.15:
	s_load_dwordx4 s[4:7], s[0:1], 0x18
	v_mov_b32_e32 v3, 0
	s_mov_b32 s0, 0x800000
	s_waitcnt lgkmcnt(0)
	global_load_ushort v5, v1, s[4:5]
	global_load_ushort v6, v1, s[6:7]
	ds_read_b64 v[0:1], v3 offset:128
	s_waitcnt lgkmcnt(0)
	v_mul_f32_e32 v7, 0x4b800000, v0
	v_cmp_gt_f32_e32 vcc, s0, v0
	v_sub_f32_e32 v1, v4, v1
	s_nop 0
	v_cndmask_b32_e32 v0, v0, v7, vcc
	v_rsq_f32_e32 v0, v0
	s_nop 0
	v_mul_f32_e32 v4, 0x45800000, v0
	v_cndmask_b32_e32 v0, v0, v4, vcc
	v_mul_f32_e32 v0, v1, v0
	s_waitcnt vmcnt(0)
	v_fma_mixlo_f16 v4, v0, v5, v6 op_sel_hi:[0,1,1]
	v_lshl_add_u64 v[0:1], v[2:3], 1, s[12:13]
	global_store_short v[0:1], v4, off
.LBB13_16:
	s_endpgm
	.section	.rodata,"a",@progbits
	.p2align	6, 0x0
	.amdhsa_kernel _Z28addBiasResidualPostLayerNormI6__halfLi1ELi32EEvPT_PKS1_S4_S4_S4_fi
		.amdhsa_group_segment_fixed_size 136
		.amdhsa_private_segment_fixed_size 0
		.amdhsa_kernarg_size 304
		.amdhsa_user_sgpr_count 2
		.amdhsa_user_sgpr_dispatch_ptr 0
		.amdhsa_user_sgpr_queue_ptr 0
		.amdhsa_user_sgpr_kernarg_segment_ptr 1
		.amdhsa_user_sgpr_dispatch_id 0
		.amdhsa_user_sgpr_kernarg_preload_length 0
		.amdhsa_user_sgpr_kernarg_preload_offset 0
		.amdhsa_user_sgpr_private_segment_size 0
		.amdhsa_uses_dynamic_stack 0
		.amdhsa_enable_private_segment 0
		.amdhsa_system_sgpr_workgroup_id_x 1
		.amdhsa_system_sgpr_workgroup_id_y 0
		.amdhsa_system_sgpr_workgroup_id_z 0
		.amdhsa_system_sgpr_workgroup_info 0
		.amdhsa_system_vgpr_workitem_id 0
		.amdhsa_next_free_vgpr 17
		.amdhsa_next_free_sgpr 18
		.amdhsa_accum_offset 20
		.amdhsa_reserve_vcc 1
		.amdhsa_float_round_mode_32 0
		.amdhsa_float_round_mode_16_64 0
		.amdhsa_float_denorm_mode_32 3
		.amdhsa_float_denorm_mode_16_64 3
		.amdhsa_dx10_clamp 1
		.amdhsa_ieee_mode 1
		.amdhsa_fp16_overflow 0
		.amdhsa_tg_split 0
		.amdhsa_exception_fp_ieee_invalid_op 0
		.amdhsa_exception_fp_denorm_src 0
		.amdhsa_exception_fp_ieee_div_zero 0
		.amdhsa_exception_fp_ieee_overflow 0
		.amdhsa_exception_fp_ieee_underflow 0
		.amdhsa_exception_fp_ieee_inexact 0
		.amdhsa_exception_int_div_zero 0
	.end_amdhsa_kernel
	.section	.text._Z28addBiasResidualPostLayerNormI6__halfLi1ELi32EEvPT_PKS1_S4_S4_S4_fi,"axG",@progbits,_Z28addBiasResidualPostLayerNormI6__halfLi1ELi32EEvPT_PKS1_S4_S4_S4_fi,comdat
.Lfunc_end13:
	.size	_Z28addBiasResidualPostLayerNormI6__halfLi1ELi32EEvPT_PKS1_S4_S4_S4_fi, .Lfunc_end13-_Z28addBiasResidualPostLayerNormI6__halfLi1ELi32EEvPT_PKS1_S4_S4_S4_fi
                                        ; -- End function
	.set _Z28addBiasResidualPostLayerNormI6__halfLi1ELi32EEvPT_PKS1_S4_S4_S4_fi.num_vgpr, 17
	.set _Z28addBiasResidualPostLayerNormI6__halfLi1ELi32EEvPT_PKS1_S4_S4_S4_fi.num_agpr, 0
	.set _Z28addBiasResidualPostLayerNormI6__halfLi1ELi32EEvPT_PKS1_S4_S4_S4_fi.numbered_sgpr, 18
	.set _Z28addBiasResidualPostLayerNormI6__halfLi1ELi32EEvPT_PKS1_S4_S4_S4_fi.num_named_barrier, 0
	.set _Z28addBiasResidualPostLayerNormI6__halfLi1ELi32EEvPT_PKS1_S4_S4_S4_fi.private_seg_size, 0
	.set _Z28addBiasResidualPostLayerNormI6__halfLi1ELi32EEvPT_PKS1_S4_S4_S4_fi.uses_vcc, 1
	.set _Z28addBiasResidualPostLayerNormI6__halfLi1ELi32EEvPT_PKS1_S4_S4_S4_fi.uses_flat_scratch, 0
	.set _Z28addBiasResidualPostLayerNormI6__halfLi1ELi32EEvPT_PKS1_S4_S4_S4_fi.has_dyn_sized_stack, 0
	.set _Z28addBiasResidualPostLayerNormI6__halfLi1ELi32EEvPT_PKS1_S4_S4_S4_fi.has_recursion, 0
	.set _Z28addBiasResidualPostLayerNormI6__halfLi1ELi32EEvPT_PKS1_S4_S4_S4_fi.has_indirect_call, 0
	.section	.AMDGPU.csdata,"",@progbits
; Kernel info:
; codeLenInByte = 1116
; TotalNumSgprs: 24
; NumVgprs: 17
; NumAgprs: 0
; TotalNumVgprs: 17
; ScratchSize: 0
; MemoryBound: 0
; FloatMode: 240
; IeeeMode: 1
; LDSByteSize: 136 bytes/workgroup (compile time only)
; SGPRBlocks: 2
; VGPRBlocks: 2
; NumSGPRsForWavesPerEU: 24
; NumVGPRsForWavesPerEU: 17
; AccumOffset: 20
; Occupancy: 8
; WaveLimiterHint : 0
; COMPUTE_PGM_RSRC2:SCRATCH_EN: 0
; COMPUTE_PGM_RSRC2:USER_SGPR: 2
; COMPUTE_PGM_RSRC2:TRAP_HANDLER: 0
; COMPUTE_PGM_RSRC2:TGID_X_EN: 1
; COMPUTE_PGM_RSRC2:TGID_Y_EN: 0
; COMPUTE_PGM_RSRC2:TGID_Z_EN: 0
; COMPUTE_PGM_RSRC2:TIDIG_COMP_CNT: 0
; COMPUTE_PGM_RSRC3_GFX90A:ACCUM_OFFSET: 4
; COMPUTE_PGM_RSRC3_GFX90A:TG_SPLIT: 0
	.section	.text._Z28addBiasResidualPostLayerNormI6__halfLi2ELi32EEvPT_PKS1_S4_S4_S4_fi,"axG",@progbits,_Z28addBiasResidualPostLayerNormI6__halfLi2ELi32EEvPT_PKS1_S4_S4_S4_fi,comdat
	.protected	_Z28addBiasResidualPostLayerNormI6__halfLi2ELi32EEvPT_PKS1_S4_S4_S4_fi ; -- Begin function _Z28addBiasResidualPostLayerNormI6__halfLi2ELi32EEvPT_PKS1_S4_S4_S4_fi
	.globl	_Z28addBiasResidualPostLayerNormI6__halfLi2ELi32EEvPT_PKS1_S4_S4_S4_fi
	.p2align	8
	.type	_Z28addBiasResidualPostLayerNormI6__halfLi2ELi32EEvPT_PKS1_S4_S4_S4_fi,@function
_Z28addBiasResidualPostLayerNormI6__halfLi2ELi32EEvPT_PKS1_S4_S4_S4_fi: ; @_Z28addBiasResidualPostLayerNormI6__halfLi2ELi32EEvPT_PKS1_S4_S4_S4_fi
; %bb.0:
	s_load_dwordx2 s[14:15], s[0:1], 0x28
	s_load_dwordx2 s[12:13], s[0:1], 0x0
	v_mov_b32_e32 v7, 0
	v_lshlrev_b32_e32 v4, 1, v0
	v_mov_b32_e32 v6, 0
	s_waitcnt lgkmcnt(0)
	s_mul_i32 s16, s15, s2
	v_cmp_gt_i32_e64 s[10:11], s15, v0
	v_add_u32_e32 v2, s16, v0
	v_mov_b32_e32 v3, v7
	s_and_saveexec_b64 s[2:3], s[10:11]
	s_cbranch_execz .LBB14_4
; %bb.1:
	s_load_dwordx4 s[4:7], s[0:1], 0x8
	s_load_dword s8, s[0:1], 0x3c
	v_mov_b32_e32 v3, 0
	v_lshlrev_b64 v[6:7], 1, v[2:3]
	v_lshl_add_u64 v[8:9], s[12:13], 0, v[6:7]
	global_load_ushort v1, v[8:9], off
	s_waitcnt lgkmcnt(0)
	v_lshl_add_u64 v[6:7], s[4:5], 0, v[6:7]
	global_load_ushort v5, v[6:7], off
	global_load_ushort v8, v4, s[6:7]
	s_and_b32 s17, s8, 0xffff
	s_waitcnt vmcnt(1)
	v_add_f16_e32 v1, v1, v5
	s_waitcnt vmcnt(0)
	v_add_f16_e32 v1, v1, v8
	v_cvt_f32_f16_e32 v6, v1
	v_add_u32_e32 v1, s17, v0
	v_cmp_gt_u32_e32 vcc, s15, v1
	v_add_f32_e32 v7, 0, v6
	s_and_saveexec_b64 s[8:9], vcc
	s_cbranch_execz .LBB14_3
; %bb.2:
	v_add_u32_e32 v10, s16, v1
	v_mov_b32_e32 v11, v3
	v_mov_b32_e32 v5, v3
	v_lshlrev_b64 v[10:11], 1, v[10:11]
	v_lshl_add_u64 v[8:9], s[6:7], 0, v[4:5]
	s_mov_b32 s7, 0
	v_lshl_add_u64 v[12:13], s[12:13], 0, v[10:11]
	v_lshl_add_u64 v[10:11], s[4:5], 0, v[10:11]
	s_lshl_b32 s6, s17, 1
	global_load_ushort v1, v[12:13], off
	global_load_ushort v3, v[10:11], off
	v_lshl_add_u64 v[8:9], v[8:9], 0, s[6:7]
	global_load_ushort v5, v[8:9], off
	s_waitcnt vmcnt(1)
	v_add_f16_e32 v1, v1, v3
	s_waitcnt vmcnt(0)
	v_add_f16_e32 v1, v1, v5
	v_cvt_f32_f16_e32 v3, v1
	v_add_f32_e32 v7, v7, v3
.LBB14_3:
	s_or_b64 exec, exec, s[8:9]
.LBB14_4:
	s_or_b64 exec, exec, s[2:3]
	v_mbcnt_lo_u32_b32 v1, -1, 0
	v_mbcnt_hi_u32_b32 v11, -1, v1
	v_and_b32_e32 v1, 0x60, v11
	v_add_u32_e32 v12, 32, v1
	v_xor_b32_e32 v1, 16, v11
	v_cmp_lt_i32_e32 vcc, v1, v12
	v_xor_b32_e32 v8, 8, v11
	v_xor_b32_e32 v9, 4, v11
	v_cndmask_b32_e32 v1, v11, v1, vcc
	v_lshlrev_b32_e32 v1, 2, v1
	ds_bpermute_b32 v5, v1, v7
	v_cmp_lt_i32_e32 vcc, v8, v12
	v_xor_b32_e32 v10, 2, v11
	v_xor_b32_e32 v13, 1, v11
	s_waitcnt lgkmcnt(0)
	v_add_f32_e32 v7, v7, v5
	v_cndmask_b32_e32 v5, v11, v8, vcc
	v_lshlrev_b32_e32 v5, 2, v5
	ds_bpermute_b32 v8, v5, v7
	v_cmp_lt_i32_e32 vcc, v9, v12
	s_waitcnt lgkmcnt(0)
	v_add_f32_e32 v7, v7, v8
	v_cndmask_b32_e32 v8, v11, v9, vcc
	v_lshlrev_b32_e32 v8, 2, v8
	ds_bpermute_b32 v9, v8, v7
	v_cmp_lt_i32_e32 vcc, v10, v12
	s_waitcnt lgkmcnt(0)
	v_add_f32_e32 v7, v7, v9
	v_cndmask_b32_e32 v9, v11, v10, vcc
	v_lshlrev_b32_e32 v9, 2, v9
	ds_bpermute_b32 v10, v9, v7
	v_cmp_lt_i32_e32 vcc, v13, v12
	s_waitcnt lgkmcnt(0)
	v_add_f32_e32 v10, v7, v10
	v_cndmask_b32_e32 v7, v11, v13, vcc
	v_lshlrev_b32_e32 v11, 2, v7
	ds_bpermute_b32 v12, v11, v10
	v_and_b32_e32 v7, 31, v0
	v_cmp_eq_u32_e64 s[4:5], 0, v7
	v_lshrrev_b32_e32 v13, 3, v0
	s_and_saveexec_b64 s[2:3], s[4:5]
	s_cbranch_execz .LBB14_6
; %bb.5:
	s_waitcnt lgkmcnt(0)
	v_add_f32_e32 v10, v10, v12
	ds_write_b32 v13, v10
.LBB14_6:
	s_or_b64 exec, exec, s[2:3]
	s_waitcnt lgkmcnt(0)
	s_barrier
	s_load_dword s17, s[0:1], 0x3c
	v_mov_b32_e32 v10, 0
	v_lshlrev_b32_e32 v14, 2, v7
	s_waitcnt lgkmcnt(0)
	s_bfe_u32 s2, s17, 0xb0005
	v_cmp_gt_u32_e64 s[6:7], s2, v0
	s_and_saveexec_b64 s[2:3], s[6:7]
; %bb.7:
	ds_read_b32 v10, v14
; %bb.8:
	s_or_b64 exec, exec, s[2:3]
	s_waitcnt lgkmcnt(0)
	ds_bpermute_b32 v7, v1, v10
	v_cvt_f32_i32_e32 v12, s15
	v_cmp_eq_u32_e64 s[8:9], 0, v0
	s_waitcnt lgkmcnt(0)
	v_add_f32_e32 v7, v10, v7
	ds_bpermute_b32 v10, v5, v7
	s_waitcnt lgkmcnt(0)
	v_add_f32_e32 v7, v7, v10
	ds_bpermute_b32 v10, v8, v7
	;; [unrolled: 3-line block ×4, first 2 shown]
	s_and_saveexec_b64 s[2:3], s[8:9]
	s_cbranch_execz .LBB14_10
; %bb.9:
	s_waitcnt lgkmcnt(0)
	v_add_f32_e32 v7, v7, v10
	v_div_scale_f32 v10, s[18:19], v12, v12, v7
	v_rcp_f32_e32 v15, v10
	v_div_scale_f32 v16, vcc, v7, v12, v7
	v_fma_f32 v17, -v10, v15, 1.0
	v_fmac_f32_e32 v15, v17, v15
	v_mul_f32_e32 v17, v16, v15
	v_fma_f32 v18, -v10, v17, v16
	v_fmac_f32_e32 v17, v18, v15
	v_fma_f32 v10, -v10, v17, v16
	v_div_fmas_f32 v10, v10, v15, v17
	v_div_fixup_f32 v7, v10, v12, v7
	v_mov_b32_e32 v10, 0
	ds_write_b32 v10, v7 offset:132
.LBB14_10:
	s_or_b64 exec, exec, s[2:3]
	s_and_b32 s17, 0xffff, s17
	v_mov_b32_e32 v7, 0
	s_waitcnt lgkmcnt(0)
	v_add_u32_e32 v10, s17, v0
	s_barrier
	s_and_saveexec_b64 s[2:3], s[10:11]
	s_cbranch_execz .LBB14_12
; %bb.11:
	v_mov_b32_e32 v0, 0
	ds_read_b32 v0, v0 offset:132
	v_mov_b32_e32 v7, v3
	v_cmp_gt_u32_e32 vcc, s15, v10
	s_waitcnt lgkmcnt(0)
	v_pk_add_f32 v[16:17], v[6:7], v[0:1] op_sel_hi:[1,0] neg_lo:[0,1] neg_hi:[0,1]
	s_nop 0
	v_pk_mul_f32 v[16:17], v[16:17], v[16:17]
	s_nop 0
	v_add_f32_e32 v0, v16, v17
	v_cndmask_b32_e32 v7, v16, v0, vcc
.LBB14_12:
	s_or_b64 exec, exec, s[2:3]
	ds_bpermute_b32 v0, v1, v7
	s_waitcnt lgkmcnt(0)
	v_add_f32_e32 v0, v7, v0
	ds_bpermute_b32 v7, v5, v0
	s_waitcnt lgkmcnt(0)
	v_add_f32_e32 v0, v0, v7
	;; [unrolled: 3-line block ×4, first 2 shown]
	ds_bpermute_b32 v7, v11, v0
	s_and_saveexec_b64 s[2:3], s[4:5]
	s_cbranch_execz .LBB14_14
; %bb.13:
	s_waitcnt lgkmcnt(0)
	v_add_f32_e32 v0, v0, v7
	ds_write_b32 v13, v0
.LBB14_14:
	s_or_b64 exec, exec, s[2:3]
	v_mov_b32_e32 v0, 0
	s_waitcnt lgkmcnt(0)
	s_barrier
	s_and_saveexec_b64 s[2:3], s[6:7]
; %bb.15:
	ds_read_b32 v0, v14
; %bb.16:
	s_or_b64 exec, exec, s[2:3]
	s_waitcnt lgkmcnt(0)
	ds_bpermute_b32 v1, v1, v0
	s_waitcnt lgkmcnt(0)
	v_add_f32_e32 v0, v0, v1
	ds_bpermute_b32 v1, v5, v0
	s_waitcnt lgkmcnt(0)
	v_add_f32_e32 v0, v0, v1
	;; [unrolled: 3-line block ×4, first 2 shown]
	ds_bpermute_b32 v1, v11, v0
	s_and_saveexec_b64 s[2:3], s[8:9]
	s_cbranch_execz .LBB14_18
; %bb.17:
	s_waitcnt lgkmcnt(0)
	v_add_f32_e32 v0, v0, v1
	v_div_scale_f32 v1, s[4:5], v12, v12, v0
	v_rcp_f32_e32 v5, v1
	v_div_scale_f32 v7, vcc, v0, v12, v0
	v_fma_f32 v8, -v1, v5, 1.0
	v_fmac_f32_e32 v5, v8, v5
	v_mul_f32_e32 v8, v7, v5
	v_fma_f32 v9, -v1, v8, v7
	v_fmac_f32_e32 v8, v9, v5
	v_fma_f32 v1, -v1, v8, v7
	v_div_fmas_f32 v1, v1, v5, v8
	v_div_fixup_f32 v0, v1, v12, v0
	v_add_f32_e32 v0, s14, v0
	v_mov_b32_e32 v1, 0
	ds_write_b32 v1, v0 offset:128
.LBB14_18:
	s_or_b64 exec, exec, s[2:3]
	s_waitcnt lgkmcnt(0)
	s_barrier
	s_and_saveexec_b64 s[2:3], s[10:11]
	s_cbranch_execz .LBB14_21
; %bb.19:
	s_load_dwordx4 s[4:7], s[0:1], 0x18
	v_mov_b32_e32 v1, 0
	s_mov_b32 s0, 0x800000
	s_waitcnt lgkmcnt(0)
	global_load_ushort v5, v4, s[4:5]
	global_load_ushort v7, v4, s[6:7]
	ds_read_b64 v[8:9], v1 offset:128
	s_waitcnt lgkmcnt(0)
	v_mul_f32_e32 v0, 0x4b800000, v8
	v_cmp_gt_f32_e32 vcc, s0, v8
	s_nop 1
	v_cndmask_b32_e32 v0, v8, v0, vcc
	v_rsq_f32_e32 v8, v0
	v_mov_b32_e32 v0, v2
	v_lshl_add_u64 v[12:13], v[0:1], 1, s[12:13]
	v_sub_f32_e32 v0, v6, v9
	v_mul_f32_e32 v2, 0x45800000, v8
	v_cndmask_b32_e32 v2, v8, v2, vcc
	v_mul_f32_e32 v0, v0, v2
	v_cmp_gt_u32_e32 vcc, s15, v10
	s_waitcnt vmcnt(0)
	v_fma_mixlo_f16 v0, v0, v5, v7 op_sel_hi:[0,1,1]
	global_store_short v[12:13], v0, off
	s_and_b64 exec, exec, vcc
	s_cbranch_execz .LBB14_21
; %bb.20:
	v_mov_b32_e32 v5, v1
	v_lshl_add_u64 v[6:7], s[4:5], 0, v[4:5]
	v_lshl_add_u64 v[4:5], s[6:7], 0, v[4:5]
	s_lshl_b32 s0, s17, 1
	s_mov_b32 s1, 0
	v_lshl_add_u64 v[6:7], v[6:7], 0, s[0:1]
	v_lshl_add_u64 v[4:5], v[4:5], 0, s[0:1]
	global_load_ushort v6, v[6:7], off
	v_sub_f32_e32 v3, v3, v9
	global_load_ushort v4, v[4:5], off
	v_add_u32_e32 v0, s16, v10
	v_mul_f32_e32 v2, v3, v2
	v_lshl_add_u64 v[0:1], v[0:1], 1, s[12:13]
	s_waitcnt vmcnt(0)
	v_fma_mixlo_f16 v2, v2, v6, v4 op_sel_hi:[0,1,1]
	global_store_short v[0:1], v2, off
.LBB14_21:
	s_endpgm
	.section	.rodata,"a",@progbits
	.p2align	6, 0x0
	.amdhsa_kernel _Z28addBiasResidualPostLayerNormI6__halfLi2ELi32EEvPT_PKS1_S4_S4_S4_fi
		.amdhsa_group_segment_fixed_size 136
		.amdhsa_private_segment_fixed_size 0
		.amdhsa_kernarg_size 304
		.amdhsa_user_sgpr_count 2
		.amdhsa_user_sgpr_dispatch_ptr 0
		.amdhsa_user_sgpr_queue_ptr 0
		.amdhsa_user_sgpr_kernarg_segment_ptr 1
		.amdhsa_user_sgpr_dispatch_id 0
		.amdhsa_user_sgpr_kernarg_preload_length 0
		.amdhsa_user_sgpr_kernarg_preload_offset 0
		.amdhsa_user_sgpr_private_segment_size 0
		.amdhsa_uses_dynamic_stack 0
		.amdhsa_enable_private_segment 0
		.amdhsa_system_sgpr_workgroup_id_x 1
		.amdhsa_system_sgpr_workgroup_id_y 0
		.amdhsa_system_sgpr_workgroup_id_z 0
		.amdhsa_system_sgpr_workgroup_info 0
		.amdhsa_system_vgpr_workitem_id 0
		.amdhsa_next_free_vgpr 19
		.amdhsa_next_free_sgpr 20
		.amdhsa_accum_offset 20
		.amdhsa_reserve_vcc 1
		.amdhsa_float_round_mode_32 0
		.amdhsa_float_round_mode_16_64 0
		.amdhsa_float_denorm_mode_32 3
		.amdhsa_float_denorm_mode_16_64 3
		.amdhsa_dx10_clamp 1
		.amdhsa_ieee_mode 1
		.amdhsa_fp16_overflow 0
		.amdhsa_tg_split 0
		.amdhsa_exception_fp_ieee_invalid_op 0
		.amdhsa_exception_fp_denorm_src 0
		.amdhsa_exception_fp_ieee_div_zero 0
		.amdhsa_exception_fp_ieee_overflow 0
		.amdhsa_exception_fp_ieee_underflow 0
		.amdhsa_exception_fp_ieee_inexact 0
		.amdhsa_exception_int_div_zero 0
	.end_amdhsa_kernel
	.section	.text._Z28addBiasResidualPostLayerNormI6__halfLi2ELi32EEvPT_PKS1_S4_S4_S4_fi,"axG",@progbits,_Z28addBiasResidualPostLayerNormI6__halfLi2ELi32EEvPT_PKS1_S4_S4_S4_fi,comdat
.Lfunc_end14:
	.size	_Z28addBiasResidualPostLayerNormI6__halfLi2ELi32EEvPT_PKS1_S4_S4_S4_fi, .Lfunc_end14-_Z28addBiasResidualPostLayerNormI6__halfLi2ELi32EEvPT_PKS1_S4_S4_S4_fi
                                        ; -- End function
	.set _Z28addBiasResidualPostLayerNormI6__halfLi2ELi32EEvPT_PKS1_S4_S4_S4_fi.num_vgpr, 19
	.set _Z28addBiasResidualPostLayerNormI6__halfLi2ELi32EEvPT_PKS1_S4_S4_S4_fi.num_agpr, 0
	.set _Z28addBiasResidualPostLayerNormI6__halfLi2ELi32EEvPT_PKS1_S4_S4_S4_fi.numbered_sgpr, 20
	.set _Z28addBiasResidualPostLayerNormI6__halfLi2ELi32EEvPT_PKS1_S4_S4_S4_fi.num_named_barrier, 0
	.set _Z28addBiasResidualPostLayerNormI6__halfLi2ELi32EEvPT_PKS1_S4_S4_S4_fi.private_seg_size, 0
	.set _Z28addBiasResidualPostLayerNormI6__halfLi2ELi32EEvPT_PKS1_S4_S4_S4_fi.uses_vcc, 1
	.set _Z28addBiasResidualPostLayerNormI6__halfLi2ELi32EEvPT_PKS1_S4_S4_S4_fi.uses_flat_scratch, 0
	.set _Z28addBiasResidualPostLayerNormI6__halfLi2ELi32EEvPT_PKS1_S4_S4_S4_fi.has_dyn_sized_stack, 0
	.set _Z28addBiasResidualPostLayerNormI6__halfLi2ELi32EEvPT_PKS1_S4_S4_S4_fi.has_recursion, 0
	.set _Z28addBiasResidualPostLayerNormI6__halfLi2ELi32EEvPT_PKS1_S4_S4_S4_fi.has_indirect_call, 0
	.section	.AMDGPU.csdata,"",@progbits
; Kernel info:
; codeLenInByte = 1436
; TotalNumSgprs: 26
; NumVgprs: 19
; NumAgprs: 0
; TotalNumVgprs: 19
; ScratchSize: 0
; MemoryBound: 0
; FloatMode: 240
; IeeeMode: 1
; LDSByteSize: 136 bytes/workgroup (compile time only)
; SGPRBlocks: 3
; VGPRBlocks: 2
; NumSGPRsForWavesPerEU: 26
; NumVGPRsForWavesPerEU: 19
; AccumOffset: 20
; Occupancy: 8
; WaveLimiterHint : 0
; COMPUTE_PGM_RSRC2:SCRATCH_EN: 0
; COMPUTE_PGM_RSRC2:USER_SGPR: 2
; COMPUTE_PGM_RSRC2:TRAP_HANDLER: 0
; COMPUTE_PGM_RSRC2:TGID_X_EN: 1
; COMPUTE_PGM_RSRC2:TGID_Y_EN: 0
; COMPUTE_PGM_RSRC2:TGID_Z_EN: 0
; COMPUTE_PGM_RSRC2:TIDIG_COMP_CNT: 0
; COMPUTE_PGM_RSRC3_GFX90A:ACCUM_OFFSET: 4
; COMPUTE_PGM_RSRC3_GFX90A:TG_SPLIT: 0
	.section	.text._Z35generalAddBiasResidualPostLayerNormI6__halfLi32EEvPT_PKS1_S4_S4_S4_fi,"axG",@progbits,_Z35generalAddBiasResidualPostLayerNormI6__halfLi32EEvPT_PKS1_S4_S4_S4_fi,comdat
	.protected	_Z35generalAddBiasResidualPostLayerNormI6__halfLi32EEvPT_PKS1_S4_S4_S4_fi ; -- Begin function _Z35generalAddBiasResidualPostLayerNormI6__halfLi32EEvPT_PKS1_S4_S4_S4_fi
	.globl	_Z35generalAddBiasResidualPostLayerNormI6__halfLi32EEvPT_PKS1_S4_S4_S4_fi
	.p2align	8
	.type	_Z35generalAddBiasResidualPostLayerNormI6__halfLi32EEvPT_PKS1_S4_S4_S4_fi,@function
_Z35generalAddBiasResidualPostLayerNormI6__halfLi32EEvPT_PKS1_S4_S4_S4_fi: ; @_Z35generalAddBiasResidualPostLayerNormI6__halfLi32EEvPT_PKS1_S4_S4_S4_fi
; %bb.0:
	s_load_dwordx2 s[16:17], s[0:1], 0x28
	s_load_dwordx2 s[10:11], s[0:1], 0x0
	v_mov_b32_e32 v3, 0
	v_lshlrev_b32_e32 v2, 2, v0
	s_waitcnt lgkmcnt(0)
	s_lshr_b32 s3, s17, 31
	s_add_i32 s3, s17, s3
	s_ashr_i32 s20, s3, 1
	v_cmp_gt_i32_e64 s[8:9], s20, v0
	s_mul_i32 s21, s17, s2
	s_and_saveexec_b64 s[2:3], s[8:9]
	s_cbranch_execz .LBB15_4
; %bb.1:
	s_load_dword s12, s[0:1], 0x3c
	s_load_dwordx4 s[4:7], s[0:1], 0x8
	v_mov_b32_e32 v3, 0
	s_lshr_b32 s14, s21, 1
	s_mov_b32 s13, 0
	s_waitcnt lgkmcnt(0)
	s_and_b32 s15, s12, 0xffff
	v_lshl_add_u64 v[4:5], s[6:7], 0, v[2:3]
	s_lshl_b32 s12, s15, 2
	s_mov_b64 s[6:7], 0
	v_mov_b32_e32 v1, v0
.LBB15_2:                               ; =>This Inner Loop Header: Depth=1
	v_add_u32_e32 v6, s14, v1
	v_ashrrev_i32_e32 v7, 31, v6
	v_lshlrev_b64 v[6:7], 2, v[6:7]
	v_lshl_add_u64 v[8:9], s[10:11], 0, v[6:7]
	v_lshl_add_u64 v[6:7], s[4:5], 0, v[6:7]
	global_load_dword v10, v[8:9], off
	global_load_dword v11, v[6:7], off
	;; [unrolled: 1-line block ×3, first 2 shown]
	v_add_u32_e32 v1, s15, v1
	v_cmp_le_i32_e32 vcc, s20, v1
	v_lshl_add_u64 v[4:5], v[4:5], 0, s[12:13]
	s_or_b64 s[6:7], vcc, s[6:7]
	s_waitcnt vmcnt(1)
	v_pk_add_f16 v6, v10, v11
	s_waitcnt vmcnt(0)
	v_pk_add_f16 v6, v6, v12
	global_store_dword v[8:9], v6, off
	v_cvt_f32_f16_e32 v7, v6
	v_cvt_f32_f16_sdwa v10, v6 dst_sel:DWORD dst_unused:UNUSED_PAD src0_sel:WORD_1
	v_add_f32_e32 v3, v3, v7
	v_add_f32_e32 v3, v3, v10
	s_andn2_b64 exec, exec, s[6:7]
	s_cbranch_execnz .LBB15_2
; %bb.3:
	s_or_b64 exec, exec, s[6:7]
.LBB15_4:
	s_or_b64 exec, exec, s[2:3]
	v_mbcnt_lo_u32_b32 v1, -1, 0
	v_mbcnt_hi_u32_b32 v4, -1, v1
	v_and_b32_e32 v1, 0x60, v4
	v_add_u32_e32 v8, 32, v1
	v_xor_b32_e32 v1, 16, v4
	v_cmp_lt_i32_e32 vcc, v1, v8
	v_xor_b32_e32 v6, 8, v4
	v_xor_b32_e32 v7, 4, v4
	v_cndmask_b32_e32 v1, v4, v1, vcc
	v_lshlrev_b32_e32 v1, 2, v1
	ds_bpermute_b32 v5, v1, v3
	v_cmp_lt_i32_e32 vcc, v6, v8
	v_xor_b32_e32 v9, 2, v4
	v_xor_b32_e32 v10, 1, v4
	s_load_dwordx4 s[12:15], s[0:1], 0x18
	s_waitcnt lgkmcnt(0)
	v_add_f32_e32 v5, v3, v5
	v_cndmask_b32_e32 v3, v4, v6, vcc
	v_lshlrev_b32_e32 v3, 2, v3
	ds_bpermute_b32 v6, v3, v5
	v_cmp_lt_i32_e32 vcc, v7, v8
	s_waitcnt lgkmcnt(0)
	v_add_f32_e32 v5, v5, v6
	v_cndmask_b32_e32 v6, v4, v7, vcc
	v_lshlrev_b32_e32 v6, 2, v6
	ds_bpermute_b32 v7, v6, v5
	v_cmp_lt_i32_e32 vcc, v9, v8
	;; [unrolled: 6-line block ×3, first 2 shown]
	s_waitcnt lgkmcnt(0)
	v_add_f32_e32 v5, v5, v9
	v_cndmask_b32_e32 v4, v4, v10, vcc
	v_lshlrev_b32_e32 v8, 2, v4
	ds_bpermute_b32 v9, v8, v5
	v_and_b32_e32 v4, 31, v0
	v_cmp_eq_u32_e64 s[4:5], 0, v4
	v_lshrrev_b32_e32 v10, 3, v0
	s_and_saveexec_b64 s[2:3], s[4:5]
	s_cbranch_execz .LBB15_6
; %bb.5:
	s_waitcnt lgkmcnt(0)
	v_add_f32_e32 v5, v5, v9
	ds_write_b32 v10, v5
.LBB15_6:
	s_or_b64 exec, exec, s[2:3]
	s_waitcnt lgkmcnt(0)
	s_barrier
	s_load_dword s18, s[0:1], 0x3c
	v_mov_b32_e32 v5, 0
	v_lshlrev_b32_e32 v11, 2, v4
	s_waitcnt lgkmcnt(0)
	s_bfe_u32 s0, s18, 0xb0005
	v_cmp_gt_u32_e64 s[0:1], s0, v0
	s_and_saveexec_b64 s[2:3], s[0:1]
; %bb.7:
	ds_read_b32 v5, v11
; %bb.8:
	s_or_b64 exec, exec, s[2:3]
	s_waitcnt lgkmcnt(0)
	ds_bpermute_b32 v4, v1, v5
	v_cvt_f32_i32_e32 v9, s17
	v_cmp_eq_u32_e64 s[6:7], 0, v0
	s_waitcnt lgkmcnt(0)
	v_add_f32_e32 v4, v5, v4
	ds_bpermute_b32 v5, v3, v4
	s_waitcnt lgkmcnt(0)
	v_add_f32_e32 v4, v4, v5
	ds_bpermute_b32 v5, v6, v4
	;; [unrolled: 3-line block ×4, first 2 shown]
	s_and_saveexec_b64 s[2:3], s[6:7]
	s_cbranch_execz .LBB15_10
; %bb.9:
	s_waitcnt lgkmcnt(0)
	v_add_f32_e32 v4, v4, v5
	v_div_scale_f32 v5, s[22:23], v9, v9, v4
	v_rcp_f32_e32 v12, v5
	v_div_scale_f32 v13, vcc, v4, v9, v4
	v_fma_f32 v14, -v5, v12, 1.0
	v_fmac_f32_e32 v12, v14, v12
	v_mul_f32_e32 v14, v13, v12
	v_fma_f32 v15, -v5, v14, v13
	v_fmac_f32_e32 v14, v15, v12
	v_fma_f32 v5, -v5, v14, v13
	v_div_fmas_f32 v5, v5, v12, v14
	v_div_fixup_f32 v4, v5, v9, v4
	v_mov_b32_e32 v5, 0
	ds_write_b32 v5, v4 offset:132
.LBB15_10:
	s_or_b64 exec, exec, s[2:3]
	s_and_b32 s17, 0xffff, s18
	v_mov_b32_e32 v12, 0
	s_waitcnt lgkmcnt(0)
	s_barrier
	s_and_saveexec_b64 s[2:3], s[8:9]
	s_cbranch_execz .LBB15_14
; %bb.11:
	v_mov_b32_e32 v12, 0
	ds_read_b32 v4, v12 offset:132
	s_lshr_b32 s22, s21, 1
	s_mov_b64 s[18:19], 0
	v_mov_b32_e32 v13, v0
	s_waitcnt lgkmcnt(0)
	v_mov_b32_e32 v5, v4
.LBB15_12:                              ; =>This Inner Loop Header: Depth=1
	v_add_u32_e32 v14, s22, v13
	v_ashrrev_i32_e32 v15, 31, v14
	v_lshl_add_u64 v[14:15], v[14:15], 2, s[10:11]
	global_load_dword v15, v[14:15], off
	v_add_u32_e32 v13, s17, v13
	v_cmp_le_i32_e32 vcc, s20, v13
	s_or_b64 s[18:19], vcc, s[18:19]
	s_waitcnt vmcnt(0)
	v_cvt_f32_f16_e32 v14, v15
	v_cvt_f32_f16_sdwa v15, v15 dst_sel:DWORD dst_unused:UNUSED_PAD src0_sel:WORD_1
	v_pk_add_f32 v[14:15], v[14:15], v[4:5] neg_lo:[0,1] neg_hi:[0,1]
	s_nop 0
	v_pk_mul_f32 v[14:15], v[14:15], v[14:15]
	s_nop 0
	v_add_f32_e32 v12, v12, v14
	v_add_f32_e32 v12, v12, v15
	s_andn2_b64 exec, exec, s[18:19]
	s_cbranch_execnz .LBB15_12
; %bb.13:
	s_or_b64 exec, exec, s[18:19]
.LBB15_14:
	s_or_b64 exec, exec, s[2:3]
	ds_bpermute_b32 v4, v1, v12
	s_waitcnt lgkmcnt(0)
	v_add_f32_e32 v4, v12, v4
	ds_bpermute_b32 v5, v3, v4
	s_waitcnt lgkmcnt(0)
	v_add_f32_e32 v4, v4, v5
	;; [unrolled: 3-line block ×4, first 2 shown]
	ds_bpermute_b32 v5, v8, v4
	s_and_saveexec_b64 s[2:3], s[4:5]
	s_cbranch_execz .LBB15_16
; %bb.15:
	s_waitcnt lgkmcnt(0)
	v_add_f32_e32 v4, v4, v5
	ds_write_b32 v10, v4
.LBB15_16:
	s_or_b64 exec, exec, s[2:3]
	v_mov_b32_e32 v4, 0
	s_waitcnt lgkmcnt(0)
	s_barrier
	s_and_saveexec_b64 s[2:3], s[0:1]
; %bb.17:
	ds_read_b32 v4, v11
; %bb.18:
	s_or_b64 exec, exec, s[2:3]
	s_waitcnt lgkmcnt(0)
	ds_bpermute_b32 v1, v1, v4
	s_waitcnt lgkmcnt(0)
	v_add_f32_e32 v1, v4, v1
	ds_bpermute_b32 v3, v3, v1
	s_waitcnt lgkmcnt(0)
	v_add_f32_e32 v1, v1, v3
	;; [unrolled: 3-line block ×4, first 2 shown]
	ds_bpermute_b32 v3, v8, v1
	s_and_saveexec_b64 s[0:1], s[6:7]
	s_cbranch_execz .LBB15_20
; %bb.19:
	s_waitcnt lgkmcnt(0)
	v_add_f32_e32 v1, v1, v3
	v_div_scale_f32 v3, s[2:3], v9, v9, v1
	v_rcp_f32_e32 v4, v3
	v_div_scale_f32 v5, vcc, v1, v9, v1
	s_mov_b32 s2, 0x800000
	v_fma_f32 v6, -v3, v4, 1.0
	v_fmac_f32_e32 v4, v6, v4
	v_mul_f32_e32 v6, v5, v4
	v_fma_f32 v7, -v3, v6, v5
	v_fmac_f32_e32 v6, v7, v4
	v_fma_f32 v3, -v3, v6, v5
	v_div_fmas_f32 v3, v3, v4, v6
	v_div_fixup_f32 v1, v3, v9, v1
	v_add_f32_e32 v1, s16, v1
	v_mul_f32_e32 v3, 0x4b800000, v1
	v_cmp_gt_f32_e32 vcc, s2, v1
	s_nop 1
	v_cndmask_b32_e32 v1, v1, v3, vcc
	v_rsq_f32_e32 v1, v1
	s_nop 0
	v_mul_f32_e32 v3, 0x45800000, v1
	v_cndmask_b32_e32 v1, v1, v3, vcc
	v_mov_b32_e32 v3, 0
	ds_write_b32 v3, v1 offset:128
.LBB15_20:
	s_or_b64 exec, exec, s[0:1]
	s_waitcnt lgkmcnt(0)
	s_barrier
	s_and_saveexec_b64 s[0:1], s[8:9]
	s_cbranch_execz .LBB15_23
; %bb.21:
	v_mov_b32_e32 v3, 0
	ds_read_b64 v[4:5], v3 offset:128
	s_lshr_b32 s4, s21, 1
	s_mov_b32 s1, 0
	s_lshl_b32 s0, s17, 2
	s_mov_b64 s[2:3], 0
	s_waitcnt lgkmcnt(0)
	v_mov_b32_e32 v6, v5
	v_mov_b32_e32 v7, v5
	;; [unrolled: 1-line block ×3, first 2 shown]
.LBB15_22:                              ; =>This Inner Loop Header: Depth=1
	v_add_u32_e32 v8, s4, v0
	v_ashrrev_i32_e32 v9, 31, v8
	v_lshl_add_u64 v[10:11], s[12:13], 0, v[2:3]
	v_lshl_add_u64 v[8:9], v[8:9], 2, s[10:11]
	;; [unrolled: 1-line block ×3, first 2 shown]
	global_load_dword v1, v[10:11], off
	global_load_dword v14, v[8:9], off
	;; [unrolled: 1-line block ×3, first 2 shown]
	v_add_u32_e32 v0, s17, v0
	v_cmp_le_i32_e32 vcc, s20, v0
	v_lshl_add_u64 v[2:3], v[2:3], 0, s[0:1]
	s_or_b64 s[2:3], vcc, s[2:3]
	s_waitcnt vmcnt(2)
	v_cvt_f32_f16_e32 v10, v1
	s_waitcnt vmcnt(1)
	v_cvt_f32_f16_e32 v12, v14
	v_cvt_f32_f16_sdwa v13, v14 dst_sel:DWORD dst_unused:UNUSED_PAD src0_sel:WORD_1
	v_cvt_f32_f16_sdwa v11, v1 dst_sel:DWORD dst_unused:UNUSED_PAD src0_sel:WORD_1
	s_waitcnt vmcnt(0)
	v_cvt_f32_f16_e32 v14, v15
	v_cvt_f32_f16_sdwa v15, v15 dst_sel:DWORD dst_unused:UNUSED_PAD src0_sel:WORD_1
	v_pk_add_f32 v[12:13], v[12:13], v[6:7] neg_lo:[0,1] neg_hi:[0,1]
	s_nop 0
	v_pk_mul_f32 v[12:13], v[12:13], v[4:5]
	s_nop 0
	v_pk_fma_f32 v[10:11], v[12:13], v[10:11], v[14:15]
	s_nop 0
	v_cvt_pk_f16_f32 v1, v10, v11
	global_store_dword v[8:9], v1, off
	s_andn2_b64 exec, exec, s[2:3]
	s_cbranch_execnz .LBB15_22
.LBB15_23:
	s_endpgm
	.section	.rodata,"a",@progbits
	.p2align	6, 0x0
	.amdhsa_kernel _Z35generalAddBiasResidualPostLayerNormI6__halfLi32EEvPT_PKS1_S4_S4_S4_fi
		.amdhsa_group_segment_fixed_size 136
		.amdhsa_private_segment_fixed_size 0
		.amdhsa_kernarg_size 304
		.amdhsa_user_sgpr_count 2
		.amdhsa_user_sgpr_dispatch_ptr 0
		.amdhsa_user_sgpr_queue_ptr 0
		.amdhsa_user_sgpr_kernarg_segment_ptr 1
		.amdhsa_user_sgpr_dispatch_id 0
		.amdhsa_user_sgpr_kernarg_preload_length 0
		.amdhsa_user_sgpr_kernarg_preload_offset 0
		.amdhsa_user_sgpr_private_segment_size 0
		.amdhsa_uses_dynamic_stack 0
		.amdhsa_enable_private_segment 0
		.amdhsa_system_sgpr_workgroup_id_x 1
		.amdhsa_system_sgpr_workgroup_id_y 0
		.amdhsa_system_sgpr_workgroup_id_z 0
		.amdhsa_system_sgpr_workgroup_info 0
		.amdhsa_system_vgpr_workitem_id 0
		.amdhsa_next_free_vgpr 16
		.amdhsa_next_free_sgpr 24
		.amdhsa_accum_offset 16
		.amdhsa_reserve_vcc 1
		.amdhsa_float_round_mode_32 0
		.amdhsa_float_round_mode_16_64 0
		.amdhsa_float_denorm_mode_32 3
		.amdhsa_float_denorm_mode_16_64 3
		.amdhsa_dx10_clamp 1
		.amdhsa_ieee_mode 1
		.amdhsa_fp16_overflow 0
		.amdhsa_tg_split 0
		.amdhsa_exception_fp_ieee_invalid_op 0
		.amdhsa_exception_fp_denorm_src 0
		.amdhsa_exception_fp_ieee_div_zero 0
		.amdhsa_exception_fp_ieee_overflow 0
		.amdhsa_exception_fp_ieee_underflow 0
		.amdhsa_exception_fp_ieee_inexact 0
		.amdhsa_exception_int_div_zero 0
	.end_amdhsa_kernel
	.section	.text._Z35generalAddBiasResidualPostLayerNormI6__halfLi32EEvPT_PKS1_S4_S4_S4_fi,"axG",@progbits,_Z35generalAddBiasResidualPostLayerNormI6__halfLi32EEvPT_PKS1_S4_S4_S4_fi,comdat
.Lfunc_end15:
	.size	_Z35generalAddBiasResidualPostLayerNormI6__halfLi32EEvPT_PKS1_S4_S4_S4_fi, .Lfunc_end15-_Z35generalAddBiasResidualPostLayerNormI6__halfLi32EEvPT_PKS1_S4_S4_S4_fi
                                        ; -- End function
	.set _Z35generalAddBiasResidualPostLayerNormI6__halfLi32EEvPT_PKS1_S4_S4_S4_fi.num_vgpr, 16
	.set _Z35generalAddBiasResidualPostLayerNormI6__halfLi32EEvPT_PKS1_S4_S4_S4_fi.num_agpr, 0
	.set _Z35generalAddBiasResidualPostLayerNormI6__halfLi32EEvPT_PKS1_S4_S4_S4_fi.numbered_sgpr, 24
	.set _Z35generalAddBiasResidualPostLayerNormI6__halfLi32EEvPT_PKS1_S4_S4_S4_fi.num_named_barrier, 0
	.set _Z35generalAddBiasResidualPostLayerNormI6__halfLi32EEvPT_PKS1_S4_S4_S4_fi.private_seg_size, 0
	.set _Z35generalAddBiasResidualPostLayerNormI6__halfLi32EEvPT_PKS1_S4_S4_S4_fi.uses_vcc, 1
	.set _Z35generalAddBiasResidualPostLayerNormI6__halfLi32EEvPT_PKS1_S4_S4_S4_fi.uses_flat_scratch, 0
	.set _Z35generalAddBiasResidualPostLayerNormI6__halfLi32EEvPT_PKS1_S4_S4_S4_fi.has_dyn_sized_stack, 0
	.set _Z35generalAddBiasResidualPostLayerNormI6__halfLi32EEvPT_PKS1_S4_S4_S4_fi.has_recursion, 0
	.set _Z35generalAddBiasResidualPostLayerNormI6__halfLi32EEvPT_PKS1_S4_S4_S4_fi.has_indirect_call, 0
	.section	.AMDGPU.csdata,"",@progbits
; Kernel info:
; codeLenInByte = 1516
; TotalNumSgprs: 30
; NumVgprs: 16
; NumAgprs: 0
; TotalNumVgprs: 16
; ScratchSize: 0
; MemoryBound: 0
; FloatMode: 240
; IeeeMode: 1
; LDSByteSize: 136 bytes/workgroup (compile time only)
; SGPRBlocks: 3
; VGPRBlocks: 1
; NumSGPRsForWavesPerEU: 30
; NumVGPRsForWavesPerEU: 16
; AccumOffset: 16
; Occupancy: 8
; WaveLimiterHint : 0
; COMPUTE_PGM_RSRC2:SCRATCH_EN: 0
; COMPUTE_PGM_RSRC2:USER_SGPR: 2
; COMPUTE_PGM_RSRC2:TRAP_HANDLER: 0
; COMPUTE_PGM_RSRC2:TGID_X_EN: 1
; COMPUTE_PGM_RSRC2:TGID_Y_EN: 0
; COMPUTE_PGM_RSRC2:TGID_Z_EN: 0
; COMPUTE_PGM_RSRC2:TIDIG_COMP_CNT: 0
; COMPUTE_PGM_RSRC3_GFX90A:ACCUM_OFFSET: 3
; COMPUTE_PGM_RSRC3_GFX90A:TG_SPLIT: 0
	.section	.text._Z30addBiasResidualPostLayerNormV2I14__hip_bfloat16Li64EEvPT_PKS1_S4_S4_S4_fi,"axG",@progbits,_Z30addBiasResidualPostLayerNormV2I14__hip_bfloat16Li64EEvPT_PKS1_S4_S4_S4_fi,comdat
	.protected	_Z30addBiasResidualPostLayerNormV2I14__hip_bfloat16Li64EEvPT_PKS1_S4_S4_S4_fi ; -- Begin function _Z30addBiasResidualPostLayerNormV2I14__hip_bfloat16Li64EEvPT_PKS1_S4_S4_S4_fi
	.globl	_Z30addBiasResidualPostLayerNormV2I14__hip_bfloat16Li64EEvPT_PKS1_S4_S4_S4_fi
	.p2align	8
	.type	_Z30addBiasResidualPostLayerNormV2I14__hip_bfloat16Li64EEvPT_PKS1_S4_S4_S4_fi,@function
_Z30addBiasResidualPostLayerNormV2I14__hip_bfloat16Li64EEvPT_PKS1_S4_S4_S4_fi: ; @_Z30addBiasResidualPostLayerNormV2I14__hip_bfloat16Li64EEvPT_PKS1_S4_S4_S4_fi
; %bb.0:
	s_load_dwordx2 s[16:17], s[0:1], 0x28
	s_load_dword s3, s[0:1], 0x3c
	s_load_dwordx4 s[8:11], s[0:1], 0x0
	s_load_dwordx2 s[6:7], s[0:1], 0x10
	s_add_u32 s4, s0, 48
	s_waitcnt lgkmcnt(0)
	s_mul_i32 s2, s17, s2
	s_addc_u32 s5, s1, 0
	s_and_b32 s12, s3, 0xffff
	s_lshr_b32 s3, s2, 31
	s_add_i32 s2, s2, s3
	s_ashr_i32 s2, s2, 1
	v_add_u32_e32 v4, s2, v0
	v_ashrrev_i32_e32 v5, 31, v4
	v_lshlrev_b64 v[6:7], 2, v[4:5]
	v_lshl_add_u64 v[2:3], s[8:9], 0, v[6:7]
	v_lshl_add_u64 v[8:9], s[10:11], 0, v[6:7]
	v_mov_b32_e32 v7, 0
	v_lshlrev_b32_e32 v6, 2, v0
	s_mov_b32 s3, 0
	v_lshl_add_u64 v[10:11], s[6:7], 0, v[6:7]
	s_lshl_b32 s2, s12, 2
	v_lshl_add_u64 v[10:11], v[10:11], 0, s[2:3]
	global_load_dword v1, v6, s[6:7]
	global_load_dword v5, v[10:11], off
	global_load_dword v16, v[8:9], off
	;; [unrolled: 1-line block ×3, first 2 shown]
	v_add_u32_e32 v8, s12, v4
	v_ashrrev_i32_e32 v9, 31, v8
	v_lshlrev_b64 v[12:13], 2, v[8:9]
	v_lshl_add_u64 v[14:15], s[8:9], 0, v[12:13]
	v_lshl_add_u64 v[12:13], s[10:11], 0, v[12:13]
	v_add_u32_e32 v8, s12, v8
	global_load_dword v18, v[12:13], off
	global_load_dword v19, v[14:15], off
	v_ashrrev_i32_e32 v9, 31, v8
	v_lshlrev_b64 v[12:13], 2, v[8:9]
	v_lshl_add_u64 v[14:15], s[8:9], 0, v[12:13]
	v_lshl_add_u64 v[12:13], s[10:11], 0, v[12:13]
	global_load_dword v20, v[12:13], off
	global_load_dword v21, v[14:15], off
	v_lshl_add_u64 v[10:11], v[10:11], 0, s[2:3]
	global_load_dword v14, v[10:11], off
	v_add_u32_e32 v8, s12, v8
	v_ashrrev_i32_e32 v9, 31, v8
	v_lshlrev_b64 v[8:9], 2, v[8:9]
	v_lshl_add_u64 v[12:13], s[8:9], 0, v[8:9]
	v_lshl_add_u64 v[8:9], s[10:11], 0, v[8:9]
	global_load_dword v22, v[8:9], off
	global_load_dword v23, v[12:13], off
	v_lshl_add_u64 v[8:9], v[10:11], 0, s[2:3]
	global_load_dword v8, v[8:9], off
	s_waitcnt vmcnt(10)
	v_and_b32_e32 v10, 0xffff0000, v5
	s_waitcnt vmcnt(9)
	v_lshlrev_b32_e32 v11, 16, v16
	s_waitcnt vmcnt(8)
	v_lshlrev_b32_e32 v12, 16, v17
	v_and_b32_e32 v13, 0xffff0000, v16
	v_and_b32_e32 v15, 0xffff0000, v17
	v_add_f32_e32 v11, v12, v11
	v_add_f32_e32 v12, v15, v13
	v_cvt_pk_bf16_f32 v12, v12, s0
	s_waitcnt vmcnt(7)
	v_lshlrev_b32_e32 v13, 16, v18
	s_waitcnt vmcnt(6)
	v_lshlrev_b32_e32 v15, 16, v19
	v_and_b32_e32 v16, 0xffff0000, v18
	v_and_b32_e32 v17, 0xffff0000, v19
	;; [unrolled: 1-line block ×3, first 2 shown]
	v_cvt_pk_bf16_f32 v11, v11, s0
	v_add_f32_e32 v13, v15, v13
	v_add_f32_e32 v15, v17, v16
	v_lshlrev_b32_e32 v12, 16, v12
	v_lshlrev_b32_e32 v1, 16, v1
	s_waitcnt vmcnt(5)
	v_lshlrev_b32_e32 v16, 16, v20
	v_and_b32_e32 v18, 0xffff0000, v20
	v_lshlrev_b32_e32 v11, 16, v11
	v_cvt_pk_bf16_f32 v20, v13, s0
	v_cvt_pk_bf16_f32 v15, v15, s0
	v_add_f32_e32 v12, v12, v9
	v_add_f32_e32 v13, v11, v1
	v_lshlrev_b32_e32 v1, 16, v15
	v_lshlrev_b32_e32 v9, 16, v20
	v_cvt_pk_bf16_f32 v20, v12, s0
	s_waitcnt vmcnt(4)
	v_lshlrev_b32_e32 v17, 16, v21
	v_add_f32_e32 v15, v1, v10
	v_lshlrev_b32_e32 v1, 16, v20
	v_lshlrev_b32_e32 v5, 16, v5
	v_add_f32_e32 v16, v17, v16
	v_cvt_pk_bf16_f32 v17, v13, s0
	v_add_f32_e32 v1, 0, v1
	v_cvt_pk_bf16_f32 v11, v16, s0
	v_add_f32_e32 v16, v9, v5
	v_lshlrev_b32_e32 v5, 16, v17
	v_cvt_pk_bf16_f32 v9, v15, s0
	v_cvt_pk_bf16_f32 v1, v1, s0
	v_and_b32_e32 v19, 0xffff0000, v21
	v_add_f32_e32 v5, 0, v5
	v_lshlrev_b32_e32 v9, 16, v9
	v_lshlrev_b32_e32 v1, 16, v1
	v_cvt_pk_bf16_f32 v10, v16, s0
	v_cvt_pk_bf16_f32 v5, v5, s0
	v_add_f32_e32 v1, v1, v9
	v_add_f32_e32 v9, v19, v18
	v_lshlrev_b32_e32 v10, 16, v10
	v_lshlrev_b32_e32 v5, 16, v5
	v_cvt_pk_bf16_f32 v9, v9, s0
	v_add_f32_e32 v5, v5, v10
	v_lshlrev_b32_e32 v9, 16, v9
	s_waitcnt vmcnt(3)
	v_and_b32_e32 v10, 0xffff0000, v14
	v_add_f32_e32 v18, v9, v10
	v_lshlrev_b32_e32 v9, 16, v11
	v_lshlrev_b32_e32 v10, 16, v14
	v_add_f32_e32 v19, v9, v10
	v_cvt_pk_bf16_f32 v5, v5, s0
	v_cvt_pk_bf16_f32 v1, v1, s0
	;; [unrolled: 1-line block ×4, first 2 shown]
	v_lshlrev_b32_e32 v1, 16, v1
	v_lshlrev_b32_e32 v10, 16, v10
	;; [unrolled: 1-line block ×4, first 2 shown]
	v_add_f32_e32 v1, v1, v10
	v_add_f32_e32 v5, v5, v9
	s_waitcnt vmcnt(2)
	v_lshlrev_b32_e32 v9, 16, v22
	s_waitcnt vmcnt(1)
	v_lshlrev_b32_e32 v10, 16, v23
	v_add_f32_e32 v9, v10, v9
	v_and_b32_e32 v10, 0xffff0000, v22
	v_and_b32_e32 v11, 0xffff0000, v23
	v_add_f32_e32 v10, v11, v10
	v_cvt_pk_bf16_f32 v9, v9, s0
	v_cvt_pk_bf16_f32 v10, v10, s0
	v_lshlrev_b32_e32 v10, 16, v10
	s_waitcnt vmcnt(0)
	v_and_b32_e32 v11, 0xffff0000, v8
	v_lshlrev_b32_e32 v9, 16, v9
	v_lshlrev_b32_e32 v8, 16, v8
	v_add_f32_e32 v20, v10, v11
	v_add_f32_e32 v21, v9, v8
	v_cvt_pk_bf16_f32 v1, v1, s0
	v_cvt_pk_bf16_f32 v5, v5, s0
	;; [unrolled: 1-line block ×4, first 2 shown]
	v_lshlrev_b32_e32 v5, 16, v5
	v_lshlrev_b32_e32 v9, 16, v9
	;; [unrolled: 1-line block ×4, first 2 shown]
	v_add_f32_e32 v5, v5, v9
	v_add_f32_e32 v1, v1, v8
	v_cvt_pk_bf16_f32 v5, v5, s0
	v_cvt_pk_bf16_f32 v1, v1, s0
	v_lshlrev_b32_e32 v1, 16, v1
	v_lshlrev_b32_e32 v5, 16, v5
	v_add_f32_e32 v1, v5, v1
	v_cvt_pk_bf16_f32 v1, v1, s0
	v_lshlrev_b32_e32 v5, 16, v1
	v_mbcnt_lo_u32_b32 v1, -1, 0
	v_mbcnt_hi_u32_b32 v11, -1, v1
	v_and_b32_e32 v1, 64, v11
	v_add_u32_e32 v14, 64, v1
	v_xor_b32_e32 v1, 32, v11
	v_cmp_lt_i32_e32 vcc, v1, v14
	s_nop 1
	v_cndmask_b32_e32 v1, v11, v1, vcc
	v_lshlrev_b32_e32 v1, 2, v1
	ds_bpermute_b32 v8, v1, v5
	s_waitcnt lgkmcnt(0)
	v_add_f32_e32 v8, v5, v8
	v_xor_b32_e32 v5, 16, v11
	v_cmp_lt_i32_e32 vcc, v5, v14
	s_nop 1
	v_cndmask_b32_e32 v5, v11, v5, vcc
	v_lshlrev_b32_e32 v5, 2, v5
	ds_bpermute_b32 v9, v5, v8
	s_waitcnt lgkmcnt(0)
	v_add_f32_e32 v9, v8, v9
	v_xor_b32_e32 v8, 8, v11
	v_cmp_lt_i32_e32 vcc, v8, v14
	s_nop 1
	v_cndmask_b32_e32 v8, v11, v8, vcc
	v_lshlrev_b32_e32 v8, 2, v8
	ds_bpermute_b32 v10, v8, v9
	s_waitcnt lgkmcnt(0)
	v_add_f32_e32 v10, v9, v10
	v_xor_b32_e32 v9, 4, v11
	v_cmp_lt_i32_e32 vcc, v9, v14
	s_nop 1
	v_cndmask_b32_e32 v9, v11, v9, vcc
	v_lshlrev_b32_e32 v9, 2, v9
	ds_bpermute_b32 v17, v9, v10
	s_waitcnt lgkmcnt(0)
	v_add_f32_e32 v17, v10, v17
	v_xor_b32_e32 v10, 2, v11
	v_cmp_lt_i32_e32 vcc, v10, v14
	s_nop 1
	v_cndmask_b32_e32 v10, v11, v10, vcc
	v_lshlrev_b32_e32 v10, 2, v10
	ds_bpermute_b32 v22, v10, v17
	s_waitcnt lgkmcnt(0)
	v_add_f32_e32 v22, v17, v22
	v_xor_b32_e32 v17, 1, v11
	v_cmp_lt_i32_e32 vcc, v17, v14
	v_lshrrev_b32_e32 v14, 4, v0
	s_nop 0
	v_cndmask_b32_e32 v11, v11, v17, vcc
	v_lshlrev_b32_e32 v11, 2, v11
	ds_bpermute_b32 v23, v11, v22
	v_and_b32_e32 v17, 63, v0
	v_cmp_eq_u32_e64 s[2:3], 0, v17
	s_and_saveexec_b64 s[6:7], s[2:3]
	s_cbranch_execz .LBB16_2
; %bb.1:
	s_waitcnt lgkmcnt(0)
	v_add_f32_e32 v22, v22, v23
	ds_write_b32 v14, v22
.LBB16_2:
	s_or_b64 exec, exec, s[6:7]
	s_waitcnt lgkmcnt(0)
	s_barrier
	s_load_dword s18, s[4:5], 0xc
	v_lshlrev_b32_e32 v17, 2, v17
	s_waitcnt lgkmcnt(0)
	s_bfe_u32 s4, s18, 0xa0006
	v_cmp_gt_u32_e64 s[4:5], s4, v0
	s_and_saveexec_b64 s[6:7], s[4:5]
; %bb.3:
	ds_read_b32 v7, v17
; %bb.4:
	s_or_b64 exec, exec, s[6:7]
	s_waitcnt lgkmcnt(0)
	ds_bpermute_b32 v22, v1, v7
	v_cvt_pk_bf16_f32 v12, v13, v12
	v_cvt_pk_bf16_f32 v16, v16, v15
	v_cvt_pk_bf16_f32 v19, v19, v18
	v_cvt_pk_bf16_f32 v20, v21, v20
	s_waitcnt lgkmcnt(0)
	v_add_f32_e32 v7, v7, v22
	ds_bpermute_b32 v22, v5, v7
	v_cmp_eq_u32_e64 s[6:7], 0, v0
	s_waitcnt lgkmcnt(0)
	v_add_f32_e32 v7, v7, v22
	ds_bpermute_b32 v22, v8, v7
	s_waitcnt lgkmcnt(0)
	v_add_f32_e32 v7, v7, v22
	ds_bpermute_b32 v22, v9, v7
	;; [unrolled: 3-line block ×4, first 2 shown]
	v_cvt_f32_i32_e32 v7, s17
	s_and_saveexec_b64 s[10:11], s[6:7]
	s_cbranch_execz .LBB16_6
; %bb.5:
	s_waitcnt lgkmcnt(0)
	v_add_f32_e32 v0, v13, v15
	v_div_scale_f32 v13, s[12:13], v7, v7, v0
	v_rcp_f32_e32 v15, v13
	v_div_scale_f32 v18, vcc, v0, v7, v0
	v_fma_f32 v21, -v13, v15, 1.0
	v_fmac_f32_e32 v15, v21, v15
	v_mul_f32_e32 v21, v18, v15
	v_fma_f32 v22, -v13, v21, v18
	v_fmac_f32_e32 v21, v22, v15
	v_fma_f32 v13, -v13, v21, v18
	v_div_fmas_f32 v13, v13, v15, v21
	v_div_fixup_f32 v0, v13, v7, v0
	v_mov_b32_e32 v13, 0
	ds_write_b32 v13, v0 offset:68
.LBB16_6:
	s_or_b64 exec, exec, s[10:11]
	v_mov_b32_e32 v13, 0
	s_waitcnt lgkmcnt(0)
	s_barrier
	ds_read_b32 v0, v13 offset:68
	v_and_b32_e32 v15, 0xffff0000, v12
	v_lshlrev_b32_e32 v12, 16, v12
	s_waitcnt lgkmcnt(0)
	v_cvt_pk_bf16_f32 v0, v0, s0
	v_lshlrev_b32_e32 v22, 16, v0
	v_sub_f32_e32 v0, v15, v22
	v_cvt_pk_bf16_f32 v15, v0, s0
	v_sub_f32_e32 v12, v12, v22
	v_lshlrev_b32_e32 v15, 16, v15
	v_cvt_pk_bf16_f32 v18, v12, s0
	v_mul_f32_e32 v21, v15, v15
	v_and_b32_e32 v15, 0xffff0000, v16
	v_lshlrev_b32_e32 v18, 16, v18
	v_sub_f32_e32 v15, v15, v22
	v_lshlrev_b32_e32 v16, 16, v16
	v_fmac_f32_e32 v21, v18, v18
	v_sub_f32_e32 v16, v16, v22
	v_cvt_pk_bf16_f32 v18, v15, s0
	v_cvt_pk_bf16_f32 v23, v16, s0
	v_lshlrev_b32_e32 v18, 16, v18
	v_lshlrev_b32_e32 v23, 16, v23
	v_mul_f32_e32 v18, v18, v18
	v_fmac_f32_e32 v18, v23, v23
	v_add_f32_e32 v21, v21, v18
	v_and_b32_e32 v18, 0xffff0000, v19
	v_sub_f32_e32 v18, v18, v22
	v_lshlrev_b32_e32 v19, 16, v19
	v_sub_f32_e32 v19, v19, v22
	v_cvt_pk_bf16_f32 v23, v18, s0
	v_cvt_pk_bf16_f32 v24, v19, s0
	v_lshlrev_b32_e32 v23, 16, v23
	v_lshlrev_b32_e32 v24, 16, v24
	v_mul_f32_e32 v23, v23, v23
	v_fmac_f32_e32 v23, v24, v24
	v_add_f32_e32 v23, v21, v23
	v_and_b32_e32 v21, 0xffff0000, v20
	v_sub_f32_e32 v21, v21, v22
	v_lshlrev_b32_e32 v20, 16, v20
	v_sub_f32_e32 v20, v20, v22
	v_cvt_pk_bf16_f32 v22, v21, s0
	v_cvt_pk_bf16_f32 v24, v20, s0
	v_lshlrev_b32_e32 v22, 16, v22
	v_lshlrev_b32_e32 v24, 16, v24
	v_mul_f32_e32 v22, v22, v22
	v_fmac_f32_e32 v22, v24, v24
	v_add_f32_e32 v22, v23, v22
	ds_bpermute_b32 v23, v1, v22
	s_waitcnt lgkmcnt(0)
	v_add_f32_e32 v22, v22, v23
	ds_bpermute_b32 v23, v5, v22
	s_waitcnt lgkmcnt(0)
	;; [unrolled: 3-line block ×5, first 2 shown]
	v_add_f32_e32 v22, v22, v23
	ds_bpermute_b32 v23, v11, v22
	s_and_saveexec_b64 s[10:11], s[2:3]
	s_cbranch_execz .LBB16_8
; %bb.7:
	s_waitcnt lgkmcnt(0)
	v_add_f32_e32 v22, v22, v23
	ds_write_b32 v14, v22
.LBB16_8:
	s_or_b64 exec, exec, s[10:11]
	s_load_dwordx4 s[12:15], s[0:1], 0x18
	s_waitcnt lgkmcnt(0)
	s_barrier
	s_and_saveexec_b64 s[0:1], s[4:5]
; %bb.9:
	ds_read_b32 v13, v17
; %bb.10:
	s_or_b64 exec, exec, s[0:1]
	s_waitcnt lgkmcnt(0)
	ds_bpermute_b32 v1, v1, v13
	s_waitcnt lgkmcnt(0)
	v_add_f32_e32 v1, v13, v1
	ds_bpermute_b32 v5, v5, v1
	s_waitcnt lgkmcnt(0)
	v_add_f32_e32 v1, v1, v5
	ds_bpermute_b32 v5, v8, v1
	v_cvt_pk_bf16_f32 v8, v12, v0
	v_cvt_pk_bf16_f32 v0, v20, v21
	s_waitcnt lgkmcnt(0)
	v_add_f32_e32 v1, v1, v5
	ds_bpermute_b32 v5, v9, v1
	s_waitcnt lgkmcnt(0)
	v_add_f32_e32 v1, v1, v5
	ds_bpermute_b32 v5, v10, v1
	;; [unrolled: 3-line block ×3, first 2 shown]
	v_cvt_pk_bf16_f32 v5, v16, v15
	v_cvt_pk_bf16_f32 v1, v19, v18
	s_and_saveexec_b64 s[0:1], s[6:7]
	s_cbranch_execz .LBB16_12
; %bb.11:
	s_waitcnt lgkmcnt(0)
	v_add_f32_e32 v9, v9, v10
	v_div_scale_f32 v10, s[2:3], v7, v7, v9
	v_rcp_f32_e32 v11, v10
	v_div_scale_f32 v12, vcc, v9, v7, v9
	s_mov_b32 s2, 0x800000
	v_fma_f32 v13, -v10, v11, 1.0
	v_fmac_f32_e32 v11, v13, v11
	v_mul_f32_e32 v13, v12, v11
	v_fma_f32 v14, -v10, v13, v12
	v_fmac_f32_e32 v13, v14, v11
	v_fma_f32 v10, -v10, v13, v12
	v_div_fmas_f32 v10, v10, v11, v13
	v_div_fixup_f32 v7, v10, v7, v9
	v_add_f32_e32 v7, s16, v7
	v_mul_f32_e32 v9, 0x4b800000, v7
	v_cmp_gt_f32_e32 vcc, s2, v7
	s_nop 1
	v_cndmask_b32_e32 v7, v7, v9, vcc
	v_rsq_f32_e32 v7, v7
	s_nop 0
	v_mul_f32_e32 v9, 0x45800000, v7
	v_cndmask_b32_e32 v7, v7, v9, vcc
	v_mov_b32_e32 v9, 0
	ds_write_b32 v9, v7 offset:64
.LBB16_12:
	s_or_b64 exec, exec, s[0:1]
	s_and_b32 s2, 0xffff, s18
	s_waitcnt lgkmcnt(0)
	s_barrier
	v_mov_b32_e32 v7, 0
	global_load_dword v9, v6, s[14:15]
	global_load_dword v14, v6, s[12:13]
	s_mov_b32 s1, 0
	v_lshl_add_u64 v[12:13], s[14:15], 0, v[6:7]
	s_lshl_b32 s0, s2, 2
	v_lshl_add_u64 v[10:11], s[12:13], 0, v[6:7]
	v_lshl_add_u64 v[12:13], v[12:13], 0, s[0:1]
	;; [unrolled: 1-line block ×3, first 2 shown]
	global_load_dword v15, v[12:13], off
	global_load_dword v16, v[10:11], off
	v_lshl_add_u64 v[12:13], v[12:13], 0, s[0:1]
	v_lshl_add_u64 v[10:11], v[10:11], 0, s[0:1]
	global_load_dword v17, v[12:13], off
	global_load_dword v18, v[10:11], off
	v_lshl_add_u64 v[12:13], v[12:13], 0, s[0:1]
	v_lshl_add_u64 v[10:11], v[10:11], 0, s[0:1]
	global_load_dword v12, v[12:13], off
	ds_read_b32 v7, v7 offset:64
	global_load_dword v10, v[10:11], off
	v_lshlrev_b32_e32 v11, 16, v8
	v_and_b32_e32 v8, 0xffff0000, v8
	v_lshlrev_b32_e32 v13, 16, v5
	s_waitcnt lgkmcnt(0)
	v_cvt_pk_bf16_f32 v7, v7, s0
	v_lshlrev_b32_e32 v7, 16, v7
	v_mul_f32_e32 v11, v7, v11
	v_mul_f32_e32 v8, v7, v8
	v_and_b32_e32 v19, 0xffff0000, v5
	v_lshlrev_b32_e32 v20, 16, v1
	v_and_b32_e32 v21, 0xffff0000, v1
	v_lshlrev_b32_e32 v22, 16, v0
	v_and_b32_e32 v23, 0xffff0000, v0
	v_cvt_pk_bf16_f32 v11, v11, s0
	v_cvt_pk_bf16_f32 v8, v8, s0
	v_mul_f32_e32 v13, v7, v13
	v_mul_f32_e32 v19, v7, v19
	;; [unrolled: 1-line block ×6, first 2 shown]
	v_lshlrev_b32_e32 v8, 16, v8
	v_lshlrev_b32_e32 v11, 16, v11
	v_cvt_pk_bf16_f32 v13, v13, s0
	v_cvt_pk_bf16_f32 v19, v19, s0
	v_add_u32_e32 v0, s2, v4
	v_cvt_pk_bf16_f32 v20, v20, s0
	v_cvt_pk_bf16_f32 v21, v21, s0
	v_lshlrev_b32_e32 v19, 16, v19
	v_lshlrev_b32_e32 v13, 16, v13
	v_ashrrev_i32_e32 v1, 31, v0
	v_add_u32_e32 v4, s2, v0
	v_lshlrev_b32_e32 v21, 16, v21
	v_lshlrev_b32_e32 v20, 16, v20
	v_lshl_add_u64 v[0:1], v[0:1], 2, s[8:9]
	v_ashrrev_i32_e32 v5, 31, v4
	v_add_u32_e32 v6, s2, v4
	v_lshl_add_u64 v[4:5], v[4:5], 2, s[8:9]
	v_cvt_pk_bf16_f32 v7, v7, s0
	v_cvt_pk_bf16_f32 v22, v22, s0
	s_waitcnt vmcnt(7)
	v_and_b32_e32 v23, 0xffff0000, v9
	s_waitcnt vmcnt(6)
	v_and_b32_e32 v24, 0xffff0000, v14
	v_lshlrev_b32_e32 v9, 16, v9
	v_lshlrev_b32_e32 v14, 16, v14
	v_fmac_f32_e32 v23, v8, v24
	v_fmac_f32_e32 v9, v11, v14
	v_cvt_pk_bf16_f32 v8, v9, v23
	global_store_dword v[2:3], v8, off
	s_waitcnt vmcnt(6)
	v_and_b32_e32 v2, 0xffff0000, v15
	s_waitcnt vmcnt(5)
	v_and_b32_e32 v3, 0xffff0000, v16
	v_lshlrev_b32_e32 v8, 16, v15
	v_lshlrev_b32_e32 v9, 16, v16
	v_fmac_f32_e32 v2, v19, v3
	v_fmac_f32_e32 v8, v13, v9
	s_waitcnt vmcnt(4)
	v_and_b32_e32 v3, 0xffff0000, v17
	s_waitcnt vmcnt(3)
	v_and_b32_e32 v9, 0xffff0000, v18
	v_lshlrev_b32_e32 v11, 16, v17
	v_lshlrev_b32_e32 v13, 16, v18
	v_cvt_pk_bf16_f32 v2, v8, v2
	v_fmac_f32_e32 v3, v21, v9
	v_fmac_f32_e32 v11, v20, v13
	global_store_dword v[0:1], v2, off
	v_cvt_pk_bf16_f32 v0, v11, v3
	s_waitcnt vmcnt(3)
	v_and_b32_e32 v8, 0xffff0000, v12
	global_store_dword v[4:5], v0, off
	s_waitcnt vmcnt(3)
	v_and_b32_e32 v0, 0xffff0000, v10
	v_lshlrev_b32_e32 v1, 16, v7
	v_fmac_f32_e32 v8, v1, v0
	v_lshlrev_b32_e32 v0, 16, v12
	v_lshlrev_b32_e32 v1, 16, v10
	;; [unrolled: 1-line block ×3, first 2 shown]
	v_fmac_f32_e32 v0, v2, v1
	v_ashrrev_i32_e32 v7, 31, v6
	v_cvt_pk_bf16_f32 v2, v0, v8
	v_lshl_add_u64 v[0:1], v[6:7], 2, s[8:9]
	global_store_dword v[0:1], v2, off
	s_endpgm
	.section	.rodata,"a",@progbits
	.p2align	6, 0x0
	.amdhsa_kernel _Z30addBiasResidualPostLayerNormV2I14__hip_bfloat16Li64EEvPT_PKS1_S4_S4_S4_fi
		.amdhsa_group_segment_fixed_size 72
		.amdhsa_private_segment_fixed_size 0
		.amdhsa_kernarg_size 304
		.amdhsa_user_sgpr_count 2
		.amdhsa_user_sgpr_dispatch_ptr 0
		.amdhsa_user_sgpr_queue_ptr 0
		.amdhsa_user_sgpr_kernarg_segment_ptr 1
		.amdhsa_user_sgpr_dispatch_id 0
		.amdhsa_user_sgpr_kernarg_preload_length 0
		.amdhsa_user_sgpr_kernarg_preload_offset 0
		.amdhsa_user_sgpr_private_segment_size 0
		.amdhsa_uses_dynamic_stack 0
		.amdhsa_enable_private_segment 0
		.amdhsa_system_sgpr_workgroup_id_x 1
		.amdhsa_system_sgpr_workgroup_id_y 0
		.amdhsa_system_sgpr_workgroup_id_z 0
		.amdhsa_system_sgpr_workgroup_info 0
		.amdhsa_system_vgpr_workitem_id 0
		.amdhsa_next_free_vgpr 25
		.amdhsa_next_free_sgpr 19
		.amdhsa_accum_offset 28
		.amdhsa_reserve_vcc 1
		.amdhsa_float_round_mode_32 0
		.amdhsa_float_round_mode_16_64 0
		.amdhsa_float_denorm_mode_32 3
		.amdhsa_float_denorm_mode_16_64 3
		.amdhsa_dx10_clamp 1
		.amdhsa_ieee_mode 1
		.amdhsa_fp16_overflow 0
		.amdhsa_tg_split 0
		.amdhsa_exception_fp_ieee_invalid_op 0
		.amdhsa_exception_fp_denorm_src 0
		.amdhsa_exception_fp_ieee_div_zero 0
		.amdhsa_exception_fp_ieee_overflow 0
		.amdhsa_exception_fp_ieee_underflow 0
		.amdhsa_exception_fp_ieee_inexact 0
		.amdhsa_exception_int_div_zero 0
	.end_amdhsa_kernel
	.section	.text._Z30addBiasResidualPostLayerNormV2I14__hip_bfloat16Li64EEvPT_PKS1_S4_S4_S4_fi,"axG",@progbits,_Z30addBiasResidualPostLayerNormV2I14__hip_bfloat16Li64EEvPT_PKS1_S4_S4_S4_fi,comdat
.Lfunc_end16:
	.size	_Z30addBiasResidualPostLayerNormV2I14__hip_bfloat16Li64EEvPT_PKS1_S4_S4_S4_fi, .Lfunc_end16-_Z30addBiasResidualPostLayerNormV2I14__hip_bfloat16Li64EEvPT_PKS1_S4_S4_S4_fi
                                        ; -- End function
	.set _Z30addBiasResidualPostLayerNormV2I14__hip_bfloat16Li64EEvPT_PKS1_S4_S4_S4_fi.num_vgpr, 25
	.set _Z30addBiasResidualPostLayerNormV2I14__hip_bfloat16Li64EEvPT_PKS1_S4_S4_S4_fi.num_agpr, 0
	.set _Z30addBiasResidualPostLayerNormV2I14__hip_bfloat16Li64EEvPT_PKS1_S4_S4_S4_fi.numbered_sgpr, 19
	.set _Z30addBiasResidualPostLayerNormV2I14__hip_bfloat16Li64EEvPT_PKS1_S4_S4_S4_fi.num_named_barrier, 0
	.set _Z30addBiasResidualPostLayerNormV2I14__hip_bfloat16Li64EEvPT_PKS1_S4_S4_S4_fi.private_seg_size, 0
	.set _Z30addBiasResidualPostLayerNormV2I14__hip_bfloat16Li64EEvPT_PKS1_S4_S4_S4_fi.uses_vcc, 1
	.set _Z30addBiasResidualPostLayerNormV2I14__hip_bfloat16Li64EEvPT_PKS1_S4_S4_S4_fi.uses_flat_scratch, 0
	.set _Z30addBiasResidualPostLayerNormV2I14__hip_bfloat16Li64EEvPT_PKS1_S4_S4_S4_fi.has_dyn_sized_stack, 0
	.set _Z30addBiasResidualPostLayerNormV2I14__hip_bfloat16Li64EEvPT_PKS1_S4_S4_S4_fi.has_recursion, 0
	.set _Z30addBiasResidualPostLayerNormV2I14__hip_bfloat16Li64EEvPT_PKS1_S4_S4_S4_fi.has_indirect_call, 0
	.section	.AMDGPU.csdata,"",@progbits
; Kernel info:
; codeLenInByte = 2816
; TotalNumSgprs: 25
; NumVgprs: 25
; NumAgprs: 0
; TotalNumVgprs: 25
; ScratchSize: 0
; MemoryBound: 0
; FloatMode: 240
; IeeeMode: 1
; LDSByteSize: 72 bytes/workgroup (compile time only)
; SGPRBlocks: 3
; VGPRBlocks: 3
; NumSGPRsForWavesPerEU: 25
; NumVGPRsForWavesPerEU: 25
; AccumOffset: 28
; Occupancy: 8
; WaveLimiterHint : 0
; COMPUTE_PGM_RSRC2:SCRATCH_EN: 0
; COMPUTE_PGM_RSRC2:USER_SGPR: 2
; COMPUTE_PGM_RSRC2:TRAP_HANDLER: 0
; COMPUTE_PGM_RSRC2:TGID_X_EN: 1
; COMPUTE_PGM_RSRC2:TGID_Y_EN: 0
; COMPUTE_PGM_RSRC2:TGID_Z_EN: 0
; COMPUTE_PGM_RSRC2:TIDIG_COMP_CNT: 0
; COMPUTE_PGM_RSRC3_GFX90A:ACCUM_OFFSET: 6
; COMPUTE_PGM_RSRC3_GFX90A:TG_SPLIT: 0
	.section	.text._Z30addBiasResidualPostLayerNormV2I14__hip_bfloat16Li32EEvPT_PKS1_S4_S4_S4_fi,"axG",@progbits,_Z30addBiasResidualPostLayerNormV2I14__hip_bfloat16Li32EEvPT_PKS1_S4_S4_S4_fi,comdat
	.protected	_Z30addBiasResidualPostLayerNormV2I14__hip_bfloat16Li32EEvPT_PKS1_S4_S4_S4_fi ; -- Begin function _Z30addBiasResidualPostLayerNormV2I14__hip_bfloat16Li32EEvPT_PKS1_S4_S4_S4_fi
	.globl	_Z30addBiasResidualPostLayerNormV2I14__hip_bfloat16Li32EEvPT_PKS1_S4_S4_S4_fi
	.p2align	8
	.type	_Z30addBiasResidualPostLayerNormV2I14__hip_bfloat16Li32EEvPT_PKS1_S4_S4_S4_fi,@function
_Z30addBiasResidualPostLayerNormV2I14__hip_bfloat16Li32EEvPT_PKS1_S4_S4_S4_fi: ; @_Z30addBiasResidualPostLayerNormV2I14__hip_bfloat16Li32EEvPT_PKS1_S4_S4_S4_fi
; %bb.0:
	s_load_dword s3, s[0:1], 0x3c
	s_load_dwordx2 s[14:15], s[0:1], 0x28
	s_load_dwordx4 s[4:7], s[0:1], 0x0
	s_load_dwordx2 s[10:11], s[0:1], 0x10
	s_mov_b32 s13, 0
	s_waitcnt lgkmcnt(0)
	s_and_b32 s8, s3, 0xffff
	s_mul_i32 s2, s15, s2
	s_lshr_b32 s3, s2, 31
	s_add_i32 s2, s2, s3
	s_ashr_i32 s2, s2, 1
	v_add_u32_e32 v4, s2, v0
	v_ashrrev_i32_e32 v5, 31, v4
	v_lshlrev_b64 v[6:7], 2, v[4:5]
	v_lshl_add_u64 v[2:3], s[4:5], 0, v[6:7]
	v_lshl_add_u64 v[8:9], s[6:7], 0, v[6:7]
	v_mov_b32_e32 v7, 0
	v_lshlrev_b32_e32 v6, 2, v0
	v_lshl_add_u64 v[10:11], s[10:11], 0, v[6:7]
	s_lshl_b32 s12, s8, 2
	v_lshl_add_u64 v[10:11], v[10:11], 0, s[12:13]
	global_load_dword v1, v6, s[10:11]
	global_load_dword v16, v[10:11], off
	global_load_dword v17, v[8:9], off
	;; [unrolled: 1-line block ×3, first 2 shown]
	v_add_u32_e32 v8, s8, v4
	v_ashrrev_i32_e32 v9, 31, v8
	v_lshlrev_b64 v[12:13], 2, v[8:9]
	v_lshl_add_u64 v[4:5], s[4:5], 0, v[12:13]
	v_lshl_add_u64 v[12:13], s[6:7], 0, v[12:13]
	global_load_dword v19, v[12:13], off
	global_load_dword v20, v[4:5], off
	v_add_u32_e32 v12, s8, v8
	v_ashrrev_i32_e32 v13, 31, v12
	v_lshlrev_b64 v[14:15], 2, v[12:13]
	v_lshl_add_u64 v[8:9], s[4:5], 0, v[14:15]
	v_lshl_add_u64 v[14:15], s[6:7], 0, v[14:15]
	global_load_dword v21, v[14:15], off
	global_load_dword v22, v[8:9], off
	v_lshl_add_u64 v[14:15], v[10:11], 0, s[12:13]
	global_load_dword v23, v[14:15], off
	v_add_u32_e32 v10, s8, v12
	v_ashrrev_i32_e32 v11, 31, v10
	v_lshlrev_b64 v[12:13], 2, v[10:11]
	v_lshl_add_u64 v[10:11], s[4:5], 0, v[12:13]
	v_lshl_add_u64 v[12:13], s[6:7], 0, v[12:13]
	global_load_dword v24, v[12:13], off
	global_load_dword v25, v[10:11], off
	v_lshl_add_u64 v[12:13], v[14:15], 0, s[12:13]
	global_load_dword v12, v[12:13], off
	s_waitcnt vmcnt(10)
	v_and_b32_e32 v14, 0xffff0000, v16
	v_lshlrev_b32_e32 v15, 16, v16
	s_waitcnt vmcnt(9)
	v_lshlrev_b32_e32 v16, 16, v17
	s_waitcnt vmcnt(8)
	v_lshlrev_b32_e32 v26, 16, v18
	v_and_b32_e32 v17, 0xffff0000, v17
	v_and_b32_e32 v18, 0xffff0000, v18
	v_add_f32_e32 v16, v26, v16
	v_add_f32_e32 v17, v18, v17
	s_waitcnt vmcnt(7)
	v_lshlrev_b32_e32 v18, 16, v19
	s_waitcnt vmcnt(6)
	v_lshlrev_b32_e32 v26, 16, v20
	v_and_b32_e32 v19, 0xffff0000, v19
	v_and_b32_e32 v20, 0xffff0000, v20
	v_cvt_pk_bf16_f32 v16, v16, s0
	v_cvt_pk_bf16_f32 v17, v17, s0
	v_and_b32_e32 v13, 0xffff0000, v1
	v_lshlrev_b32_e32 v1, 16, v1
	v_add_f32_e32 v18, v26, v18
	v_add_f32_e32 v19, v20, v19
	v_lshlrev_b32_e32 v17, 16, v17
	v_lshlrev_b32_e32 v27, 16, v16
	s_waitcnt vmcnt(5)
	v_lshlrev_b32_e32 v20, 16, v21
	s_waitcnt vmcnt(4)
	v_lshlrev_b32_e32 v26, 16, v22
	v_and_b32_e32 v21, 0xffff0000, v21
	v_and_b32_e32 v22, 0xffff0000, v22
	v_cvt_pk_bf16_f32 v28, v18, s0
	v_cvt_pk_bf16_f32 v19, v19, s0
	v_add_f32_e32 v16, v17, v13
	v_add_f32_e32 v18, v27, v1
	;; [unrolled: 1-line block ×4, first 2 shown]
	v_lshlrev_b32_e32 v1, 16, v19
	v_lshlrev_b32_e32 v13, 16, v28
	v_cvt_pk_bf16_f32 v22, v18, s0
	v_cvt_pk_bf16_f32 v26, v16, s0
	;; [unrolled: 1-line block ×4, first 2 shown]
	v_add_f32_e32 v20, v1, v14
	v_add_f32_e32 v21, v13, v15
	v_lshlrev_b32_e32 v1, 16, v26
	v_lshlrev_b32_e32 v13, 16, v22
	v_add_f32_e32 v1, 0, v1
	v_add_f32_e32 v13, 0, v13
	v_cvt_pk_bf16_f32 v14, v20, s0
	v_cvt_pk_bf16_f32 v15, v21, s0
	;; [unrolled: 1-line block ×4, first 2 shown]
	v_lshlrev_b32_e32 v15, 16, v15
	v_lshlrev_b32_e32 v14, 16, v14
	;; [unrolled: 1-line block ×4, first 2 shown]
	v_add_f32_e32 v13, v13, v15
	v_add_f32_e32 v1, v1, v14
	v_lshlrev_b32_e32 v14, 16, v19
	s_waitcnt vmcnt(3)
	v_and_b32_e32 v15, 0xffff0000, v23
	v_add_f32_e32 v22, v14, v15
	v_lshlrev_b32_e32 v14, 16, v17
	v_lshlrev_b32_e32 v15, 16, v23
	v_add_f32_e32 v23, v14, v15
	v_cvt_pk_bf16_f32 v13, v13, s0
	v_cvt_pk_bf16_f32 v1, v1, s0
	;; [unrolled: 1-line block ×4, first 2 shown]
	v_lshlrev_b32_e32 v1, 16, v1
	v_lshlrev_b32_e32 v15, 16, v15
	;; [unrolled: 1-line block ×4, first 2 shown]
	v_add_f32_e32 v1, v1, v15
	v_add_f32_e32 v13, v13, v14
	s_waitcnt vmcnt(2)
	v_lshlrev_b32_e32 v14, 16, v24
	s_waitcnt vmcnt(1)
	v_lshlrev_b32_e32 v15, 16, v25
	v_add_f32_e32 v14, v15, v14
	v_and_b32_e32 v15, 0xffff0000, v24
	v_and_b32_e32 v17, 0xffff0000, v25
	v_add_f32_e32 v15, v17, v15
	v_cvt_pk_bf16_f32 v14, v14, s0
	v_cvt_pk_bf16_f32 v15, v15, s0
	v_lshlrev_b32_e32 v15, 16, v15
	s_waitcnt vmcnt(0)
	v_and_b32_e32 v17, 0xffff0000, v12
	v_lshlrev_b32_e32 v14, 16, v14
	v_lshlrev_b32_e32 v12, 16, v12
	v_add_f32_e32 v24, v15, v17
	v_add_f32_e32 v25, v14, v12
	v_cvt_pk_bf16_f32 v1, v1, s0
	v_cvt_pk_bf16_f32 v13, v13, s0
	;; [unrolled: 1-line block ×4, first 2 shown]
	v_lshlrev_b32_e32 v13, 16, v13
	v_lshlrev_b32_e32 v14, 16, v14
	;; [unrolled: 1-line block ×4, first 2 shown]
	v_add_f32_e32 v13, v13, v14
	v_add_f32_e32 v1, v1, v12
	v_cvt_pk_bf16_f32 v13, v13, s0
	v_cvt_pk_bf16_f32 v1, v1, s0
	v_lshlrev_b32_e32 v1, 16, v1
	v_lshlrev_b32_e32 v12, 16, v13
	v_add_f32_e32 v1, v12, v1
	v_cvt_pk_bf16_f32 v1, v1, s0
	v_lshlrev_b32_e32 v12, 16, v1
	v_mbcnt_lo_u32_b32 v1, -1, 0
	v_mbcnt_hi_u32_b32 v15, -1, v1
	v_and_b32_e32 v1, 0x60, v15
	v_add_u32_e32 v17, 32, v1
	v_xor_b32_e32 v1, 16, v15
	v_cmp_lt_i32_e32 vcc, v1, v17
	s_nop 1
	v_cndmask_b32_e32 v1, v15, v1, vcc
	v_lshlrev_b32_e32 v1, 2, v1
	ds_bpermute_b32 v13, v1, v12
	s_waitcnt lgkmcnt(0)
	v_add_f32_e32 v13, v12, v13
	v_xor_b32_e32 v12, 8, v15
	v_cmp_lt_i32_e32 vcc, v12, v17
	s_nop 1
	v_cndmask_b32_e32 v12, v15, v12, vcc
	v_lshlrev_b32_e32 v12, 2, v12
	ds_bpermute_b32 v14, v12, v13
	s_waitcnt lgkmcnt(0)
	v_add_f32_e32 v14, v13, v14
	;; [unrolled: 8-line block ×4, first 2 shown]
	v_xor_b32_e32 v19, 1, v15
	v_cmp_lt_i32_e32 vcc, v19, v17
	v_lshrrev_b32_e32 v17, 3, v0
	s_nop 0
	v_cndmask_b32_e32 v15, v15, v19, vcc
	v_lshlrev_b32_e32 v15, 2, v15
	ds_bpermute_b32 v27, v15, v26
	v_and_b32_e32 v19, 31, v0
	v_cmp_eq_u32_e64 s[2:3], 0, v19
	s_and_saveexec_b64 s[4:5], s[2:3]
	s_cbranch_execz .LBB17_2
; %bb.1:
	s_waitcnt lgkmcnt(0)
	v_add_f32_e32 v26, v26, v27
	ds_write_b32 v17, v26
.LBB17_2:
	s_or_b64 exec, exec, s[4:5]
	s_lshr_b32 s4, s8, 5
	v_cmp_gt_u32_e64 s[4:5], s4, v0
	v_lshlrev_b32_e32 v19, 2, v19
	s_waitcnt lgkmcnt(0)
	s_barrier
	s_and_saveexec_b64 s[6:7], s[4:5]
; %bb.3:
	ds_read_b32 v7, v19
; %bb.4:
	s_or_b64 exec, exec, s[6:7]
	s_waitcnt lgkmcnt(0)
	ds_bpermute_b32 v26, v1, v7
	v_cvt_pk_bf16_f32 v16, v18, v16
	v_cvt_pk_bf16_f32 v21, v21, v20
	v_cmp_eq_u32_e64 s[6:7], 0, v0
	s_waitcnt lgkmcnt(0)
	v_add_f32_e32 v7, v7, v26
	ds_bpermute_b32 v26, v12, v7
	s_waitcnt lgkmcnt(0)
	v_add_f32_e32 v7, v7, v26
	ds_bpermute_b32 v26, v13, v7
	;; [unrolled: 3-line block ×4, first 2 shown]
	v_cvt_f32_i32_e32 v7, s15
	v_cvt_pk_bf16_f32 v26, v23, v22
	v_cvt_pk_bf16_f32 v22, v25, v24
	s_and_saveexec_b64 s[8:9], s[6:7]
	s_cbranch_execz .LBB17_6
; %bb.5:
	s_waitcnt lgkmcnt(0)
	v_add_f32_e32 v0, v18, v20
	v_div_scale_f32 v18, s[10:11], v7, v7, v0
	v_rcp_f32_e32 v20, v18
	v_div_scale_f32 v23, vcc, v0, v7, v0
	v_fma_f32 v24, -v18, v20, 1.0
	v_fmac_f32_e32 v20, v24, v20
	v_mul_f32_e32 v24, v23, v20
	v_fma_f32 v25, -v18, v24, v23
	v_fmac_f32_e32 v24, v25, v20
	v_fma_f32 v18, -v18, v24, v23
	v_div_fmas_f32 v18, v18, v20, v24
	v_div_fixup_f32 v0, v18, v7, v0
	v_mov_b32_e32 v18, 0
	ds_write_b32 v18, v0 offset:132
.LBB17_6:
	s_or_b64 exec, exec, s[8:9]
	v_mov_b32_e32 v18, 0
	s_waitcnt lgkmcnt(0)
	s_barrier
	ds_read_b32 v0, v18 offset:132
	v_and_b32_e32 v20, 0xffff0000, v16
	v_lshlrev_b32_e32 v16, 16, v16
	s_waitcnt lgkmcnt(0)
	v_cvt_pk_bf16_f32 v0, v0, s0
	v_lshlrev_b32_e32 v27, 16, v0
	v_sub_f32_e32 v0, v20, v27
	v_cvt_pk_bf16_f32 v20, v0, s0
	v_sub_f32_e32 v16, v16, v27
	v_lshlrev_b32_e32 v20, 16, v20
	v_cvt_pk_bf16_f32 v23, v16, s0
	v_mul_f32_e32 v24, v20, v20
	v_and_b32_e32 v20, 0xffff0000, v21
	v_lshlrev_b32_e32 v23, 16, v23
	v_sub_f32_e32 v20, v20, v27
	v_lshlrev_b32_e32 v21, 16, v21
	v_fmac_f32_e32 v24, v23, v23
	v_sub_f32_e32 v21, v21, v27
	v_cvt_pk_bf16_f32 v23, v20, s0
	v_cvt_pk_bf16_f32 v25, v21, s0
	v_lshlrev_b32_e32 v23, 16, v23
	v_lshlrev_b32_e32 v25, 16, v25
	v_mul_f32_e32 v23, v23, v23
	v_fmac_f32_e32 v23, v25, v25
	v_add_f32_e32 v25, v24, v23
	v_and_b32_e32 v23, 0xffff0000, v26
	v_sub_f32_e32 v23, v23, v27
	v_lshlrev_b32_e32 v24, 16, v26
	v_sub_f32_e32 v24, v24, v27
	v_cvt_pk_bf16_f32 v26, v23, s0
	v_cvt_pk_bf16_f32 v28, v24, s0
	v_lshlrev_b32_e32 v26, 16, v26
	v_lshlrev_b32_e32 v28, 16, v28
	v_mul_f32_e32 v26, v26, v26
	v_fmac_f32_e32 v26, v28, v28
	v_add_f32_e32 v26, v25, v26
	v_and_b32_e32 v25, 0xffff0000, v22
	v_sub_f32_e32 v25, v25, v27
	v_lshlrev_b32_e32 v22, 16, v22
	v_sub_f32_e32 v22, v22, v27
	v_cvt_pk_bf16_f32 v27, v25, s0
	v_cvt_pk_bf16_f32 v28, v22, s0
	v_lshlrev_b32_e32 v27, 16, v27
	v_lshlrev_b32_e32 v28, 16, v28
	v_mul_f32_e32 v27, v27, v27
	v_fmac_f32_e32 v27, v28, v28
	v_add_f32_e32 v26, v26, v27
	ds_bpermute_b32 v27, v1, v26
	s_waitcnt lgkmcnt(0)
	v_add_f32_e32 v26, v26, v27
	ds_bpermute_b32 v27, v12, v26
	s_waitcnt lgkmcnt(0)
	;; [unrolled: 3-line block ×4, first 2 shown]
	v_add_f32_e32 v26, v26, v27
	ds_bpermute_b32 v27, v15, v26
	s_and_saveexec_b64 s[8:9], s[2:3]
	s_cbranch_execz .LBB17_8
; %bb.7:
	s_waitcnt lgkmcnt(0)
	v_add_f32_e32 v26, v26, v27
	ds_write_b32 v17, v26
.LBB17_8:
	s_or_b64 exec, exec, s[8:9]
	s_load_dwordx4 s[8:11], s[0:1], 0x18
	s_waitcnt lgkmcnt(0)
	s_barrier
	s_and_saveexec_b64 s[0:1], s[4:5]
; %bb.9:
	ds_read_b32 v18, v19
; %bb.10:
	s_or_b64 exec, exec, s[0:1]
	s_waitcnt lgkmcnt(0)
	ds_bpermute_b32 v1, v1, v18
	s_waitcnt lgkmcnt(0)
	v_add_f32_e32 v1, v18, v1
	ds_bpermute_b32 v12, v12, v1
	s_waitcnt lgkmcnt(0)
	v_add_f32_e32 v1, v1, v12
	ds_bpermute_b32 v12, v13, v1
	v_cvt_pk_bf16_f32 v13, v16, v0
	v_cvt_pk_bf16_f32 v0, v22, v25
	s_waitcnt lgkmcnt(0)
	v_add_f32_e32 v1, v1, v12
	ds_bpermute_b32 v12, v14, v1
	s_waitcnt lgkmcnt(0)
	v_add_f32_e32 v14, v1, v12
	ds_bpermute_b32 v15, v15, v14
	v_cvt_pk_bf16_f32 v12, v21, v20
	v_cvt_pk_bf16_f32 v1, v24, v23
	s_and_saveexec_b64 s[0:1], s[6:7]
	s_cbranch_execz .LBB17_12
; %bb.11:
	s_waitcnt lgkmcnt(0)
	v_add_f32_e32 v14, v14, v15
	v_div_scale_f32 v15, s[2:3], v7, v7, v14
	v_rcp_f32_e32 v16, v15
	v_div_scale_f32 v17, vcc, v14, v7, v14
	s_mov_b32 s2, 0x800000
	v_fma_f32 v18, -v15, v16, 1.0
	v_fmac_f32_e32 v16, v18, v16
	v_mul_f32_e32 v18, v17, v16
	v_fma_f32 v19, -v15, v18, v17
	v_fmac_f32_e32 v18, v19, v16
	v_fma_f32 v15, -v15, v18, v17
	v_div_fmas_f32 v15, v15, v16, v18
	v_div_fixup_f32 v7, v15, v7, v14
	v_add_f32_e32 v7, s14, v7
	v_mul_f32_e32 v14, 0x4b800000, v7
	v_cmp_gt_f32_e32 vcc, s2, v7
	s_nop 1
	v_cndmask_b32_e32 v7, v7, v14, vcc
	v_rsq_f32_e32 v7, v7
	s_nop 0
	v_mul_f32_e32 v14, 0x45800000, v7
	v_cndmask_b32_e32 v7, v7, v14, vcc
	v_mov_b32_e32 v14, 0
	ds_write_b32 v14, v7 offset:128
.LBB17_12:
	s_or_b64 exec, exec, s[0:1]
	s_waitcnt lgkmcnt(0)
	s_barrier
	global_load_dword v18, v6, s[10:11]
	global_load_dword v19, v6, s[8:9]
	v_mov_b32_e32 v7, 0
	v_lshl_add_u64 v[16:17], s[10:11], 0, v[6:7]
	v_lshl_add_u64 v[14:15], s[8:9], 0, v[6:7]
	;; [unrolled: 1-line block ×4, first 2 shown]
	global_load_dword v6, v[16:17], off
	global_load_dword v20, v[14:15], off
	v_lshl_add_u64 v[16:17], v[16:17], 0, s[12:13]
	v_lshl_add_u64 v[14:15], v[14:15], 0, s[12:13]
	global_load_dword v21, v[16:17], off
	global_load_dword v22, v[14:15], off
	v_lshl_add_u64 v[16:17], v[16:17], 0, s[12:13]
	v_lshl_add_u64 v[14:15], v[14:15], 0, s[12:13]
	global_load_dword v23, v[16:17], off
	global_load_dword v24, v[14:15], off
	ds_read_b32 v7, v7 offset:128
	v_lshlrev_b32_e32 v14, 16, v13
	v_and_b32_e32 v13, 0xffff0000, v13
	v_lshlrev_b32_e32 v15, 16, v12
	v_and_b32_e32 v12, 0xffff0000, v12
	s_waitcnt lgkmcnt(0)
	v_cvt_pk_bf16_f32 v7, v7, s0
	v_lshlrev_b32_e32 v7, 16, v7
	v_lshlrev_b32_e32 v16, 16, v1
	v_and_b32_e32 v1, 0xffff0000, v1
	v_lshlrev_b32_e32 v17, 16, v0
	v_and_b32_e32 v0, 0xffff0000, v0
	v_mul_f32_e32 v14, v7, v14
	v_mul_f32_e32 v13, v7, v13
	;; [unrolled: 1-line block ×8, first 2 shown]
	v_cvt_pk_bf16_f32 v7, v14, s0
	v_cvt_pk_bf16_f32 v13, v13, s0
	;; [unrolled: 1-line block ×5, first 2 shown]
	v_lshlrev_b32_e32 v13, 16, v13
	v_lshlrev_b32_e32 v7, 16, v7
	v_cvt_pk_bf16_f32 v12, v12, s0
	v_cvt_pk_bf16_f32 v1, v1, s0
	v_lshlrev_b32_e32 v12, 16, v12
	v_lshlrev_b32_e32 v14, 16, v14
	v_cvt_pk_bf16_f32 v0, v0, s0
	v_lshlrev_b32_e32 v1, 16, v1
	v_lshlrev_b32_e32 v15, 16, v15
	;; [unrolled: 1-line block ×4, first 2 shown]
	s_waitcnt vmcnt(7)
	v_and_b32_e32 v17, 0xffff0000, v18
	s_waitcnt vmcnt(6)
	v_and_b32_e32 v25, 0xffff0000, v19
	v_lshlrev_b32_e32 v18, 16, v18
	v_lshlrev_b32_e32 v19, 16, v19
	v_fmac_f32_e32 v17, v13, v25
	v_fmac_f32_e32 v18, v7, v19
	v_cvt_pk_bf16_f32 v7, v18, v17
	global_store_dword v[2:3], v7, off
	s_waitcnt vmcnt(6)
	v_and_b32_e32 v2, 0xffff0000, v6
	s_waitcnt vmcnt(5)
	v_and_b32_e32 v3, 0xffff0000, v20
	v_lshlrev_b32_e32 v6, 16, v6
	v_lshlrev_b32_e32 v7, 16, v20
	v_fmac_f32_e32 v2, v12, v3
	v_fmac_f32_e32 v6, v14, v7
	s_waitcnt vmcnt(4)
	v_and_b32_e32 v3, 0xffff0000, v21
	s_waitcnt vmcnt(3)
	v_and_b32_e32 v7, 0xffff0000, v22
	v_lshlrev_b32_e32 v12, 16, v21
	v_lshlrev_b32_e32 v13, 16, v22
	v_cvt_pk_bf16_f32 v2, v6, v2
	v_fmac_f32_e32 v3, v1, v7
	v_fmac_f32_e32 v12, v15, v13
	s_waitcnt vmcnt(2)
	v_and_b32_e32 v1, 0xffff0000, v23
	s_waitcnt vmcnt(1)
	v_and_b32_e32 v6, 0xffff0000, v24
	v_lshlrev_b32_e32 v7, 16, v23
	v_lshlrev_b32_e32 v13, 16, v24
	v_fmac_f32_e32 v1, v0, v6
	v_fmac_f32_e32 v7, v16, v13
	global_store_dword v[4:5], v2, off
	v_cvt_pk_bf16_f32 v2, v12, v3
	v_cvt_pk_bf16_f32 v0, v7, v1
	global_store_dword v[8:9], v2, off
	global_store_dword v[10:11], v0, off
	s_endpgm
	.section	.rodata,"a",@progbits
	.p2align	6, 0x0
	.amdhsa_kernel _Z30addBiasResidualPostLayerNormV2I14__hip_bfloat16Li32EEvPT_PKS1_S4_S4_S4_fi
		.amdhsa_group_segment_fixed_size 136
		.amdhsa_private_segment_fixed_size 0
		.amdhsa_kernarg_size 304
		.amdhsa_user_sgpr_count 2
		.amdhsa_user_sgpr_dispatch_ptr 0
		.amdhsa_user_sgpr_queue_ptr 0
		.amdhsa_user_sgpr_kernarg_segment_ptr 1
		.amdhsa_user_sgpr_dispatch_id 0
		.amdhsa_user_sgpr_kernarg_preload_length 0
		.amdhsa_user_sgpr_kernarg_preload_offset 0
		.amdhsa_user_sgpr_private_segment_size 0
		.amdhsa_uses_dynamic_stack 0
		.amdhsa_enable_private_segment 0
		.amdhsa_system_sgpr_workgroup_id_x 1
		.amdhsa_system_sgpr_workgroup_id_y 0
		.amdhsa_system_sgpr_workgroup_id_z 0
		.amdhsa_system_sgpr_workgroup_info 0
		.amdhsa_system_vgpr_workitem_id 0
		.amdhsa_next_free_vgpr 29
		.amdhsa_next_free_sgpr 16
		.amdhsa_accum_offset 32
		.amdhsa_reserve_vcc 1
		.amdhsa_float_round_mode_32 0
		.amdhsa_float_round_mode_16_64 0
		.amdhsa_float_denorm_mode_32 3
		.amdhsa_float_denorm_mode_16_64 3
		.amdhsa_dx10_clamp 1
		.amdhsa_ieee_mode 1
		.amdhsa_fp16_overflow 0
		.amdhsa_tg_split 0
		.amdhsa_exception_fp_ieee_invalid_op 0
		.amdhsa_exception_fp_denorm_src 0
		.amdhsa_exception_fp_ieee_div_zero 0
		.amdhsa_exception_fp_ieee_overflow 0
		.amdhsa_exception_fp_ieee_underflow 0
		.amdhsa_exception_fp_ieee_inexact 0
		.amdhsa_exception_int_div_zero 0
	.end_amdhsa_kernel
	.section	.text._Z30addBiasResidualPostLayerNormV2I14__hip_bfloat16Li32EEvPT_PKS1_S4_S4_S4_fi,"axG",@progbits,_Z30addBiasResidualPostLayerNormV2I14__hip_bfloat16Li32EEvPT_PKS1_S4_S4_S4_fi,comdat
.Lfunc_end17:
	.size	_Z30addBiasResidualPostLayerNormV2I14__hip_bfloat16Li32EEvPT_PKS1_S4_S4_S4_fi, .Lfunc_end17-_Z30addBiasResidualPostLayerNormV2I14__hip_bfloat16Li32EEvPT_PKS1_S4_S4_S4_fi
                                        ; -- End function
	.set _Z30addBiasResidualPostLayerNormV2I14__hip_bfloat16Li32EEvPT_PKS1_S4_S4_S4_fi.num_vgpr, 29
	.set _Z30addBiasResidualPostLayerNormV2I14__hip_bfloat16Li32EEvPT_PKS1_S4_S4_S4_fi.num_agpr, 0
	.set _Z30addBiasResidualPostLayerNormV2I14__hip_bfloat16Li32EEvPT_PKS1_S4_S4_S4_fi.numbered_sgpr, 16
	.set _Z30addBiasResidualPostLayerNormV2I14__hip_bfloat16Li32EEvPT_PKS1_S4_S4_S4_fi.num_named_barrier, 0
	.set _Z30addBiasResidualPostLayerNormV2I14__hip_bfloat16Li32EEvPT_PKS1_S4_S4_S4_fi.private_seg_size, 0
	.set _Z30addBiasResidualPostLayerNormV2I14__hip_bfloat16Li32EEvPT_PKS1_S4_S4_S4_fi.uses_vcc, 1
	.set _Z30addBiasResidualPostLayerNormV2I14__hip_bfloat16Li32EEvPT_PKS1_S4_S4_S4_fi.uses_flat_scratch, 0
	.set _Z30addBiasResidualPostLayerNormV2I14__hip_bfloat16Li32EEvPT_PKS1_S4_S4_S4_fi.has_dyn_sized_stack, 0
	.set _Z30addBiasResidualPostLayerNormV2I14__hip_bfloat16Li32EEvPT_PKS1_S4_S4_S4_fi.has_recursion, 0
	.set _Z30addBiasResidualPostLayerNormV2I14__hip_bfloat16Li32EEvPT_PKS1_S4_S4_S4_fi.has_indirect_call, 0
	.section	.AMDGPU.csdata,"",@progbits
; Kernel info:
; codeLenInByte = 2648
; TotalNumSgprs: 22
; NumVgprs: 29
; NumAgprs: 0
; TotalNumVgprs: 29
; ScratchSize: 0
; MemoryBound: 0
; FloatMode: 240
; IeeeMode: 1
; LDSByteSize: 136 bytes/workgroup (compile time only)
; SGPRBlocks: 2
; VGPRBlocks: 3
; NumSGPRsForWavesPerEU: 22
; NumVGPRsForWavesPerEU: 29
; AccumOffset: 32
; Occupancy: 8
; WaveLimiterHint : 0
; COMPUTE_PGM_RSRC2:SCRATCH_EN: 0
; COMPUTE_PGM_RSRC2:USER_SGPR: 2
; COMPUTE_PGM_RSRC2:TRAP_HANDLER: 0
; COMPUTE_PGM_RSRC2:TGID_X_EN: 1
; COMPUTE_PGM_RSRC2:TGID_Y_EN: 0
; COMPUTE_PGM_RSRC2:TGID_Z_EN: 0
; COMPUTE_PGM_RSRC2:TIDIG_COMP_CNT: 0
; COMPUTE_PGM_RSRC3_GFX90A:ACCUM_OFFSET: 7
; COMPUTE_PGM_RSRC3_GFX90A:TG_SPLIT: 0
	.section	.text._Z28addBiasResidualPostLayerNormI14__hip_bfloat16Li1ELi64EEvPT_PKS1_S4_S4_S4_fi,"axG",@progbits,_Z28addBiasResidualPostLayerNormI14__hip_bfloat16Li1ELi64EEvPT_PKS1_S4_S4_S4_fi,comdat
	.protected	_Z28addBiasResidualPostLayerNormI14__hip_bfloat16Li1ELi64EEvPT_PKS1_S4_S4_S4_fi ; -- Begin function _Z28addBiasResidualPostLayerNormI14__hip_bfloat16Li1ELi64EEvPT_PKS1_S4_S4_S4_fi
	.globl	_Z28addBiasResidualPostLayerNormI14__hip_bfloat16Li1ELi64EEvPT_PKS1_S4_S4_S4_fi
	.p2align	8
	.type	_Z28addBiasResidualPostLayerNormI14__hip_bfloat16Li1ELi64EEvPT_PKS1_S4_S4_S4_fi,@function
_Z28addBiasResidualPostLayerNormI14__hip_bfloat16Li1ELi64EEvPT_PKS1_S4_S4_S4_fi: ; @_Z28addBiasResidualPostLayerNormI14__hip_bfloat16Li1ELi64EEvPT_PKS1_S4_S4_S4_fi
; %bb.0:
	s_load_dwordx2 s[14:15], s[0:1], 0x28
	s_load_dwordx2 s[12:13], s[0:1], 0x0
	v_mov_b32_e32 v5, 0
	v_lshlrev_b32_e32 v1, 1, v0
                                        ; implicit-def: $vgpr4
	s_waitcnt lgkmcnt(0)
	s_mul_i32 s2, s15, s2
	v_cmp_gt_i32_e64 s[10:11], s15, v0
	v_add_u32_e32 v2, s2, v0
	s_and_saveexec_b64 s[2:3], s[10:11]
	s_cbranch_execz .LBB18_2
; %bb.1:
	s_load_dwordx4 s[4:7], s[0:1], 0x8
	v_mov_b32_e32 v3, 0
	v_lshlrev_b64 v[4:5], 1, v[2:3]
	v_lshl_add_u64 v[6:7], s[12:13], 0, v[4:5]
	global_load_ushort v3, v[6:7], off
	s_waitcnt lgkmcnt(0)
	v_lshl_add_u64 v[4:5], s[4:5], 0, v[4:5]
	global_load_ushort v6, v[4:5], off
	global_load_ushort v7, v1, s[6:7]
	s_waitcnt vmcnt(2)
	v_lshlrev_b32_e32 v3, 16, v3
	s_waitcnt vmcnt(1)
	v_lshlrev_b32_e32 v4, 16, v6
	v_add_f32_e32 v3, v3, v4
	v_cvt_pk_bf16_f32 v3, v3, s0
	v_lshlrev_b32_e32 v3, 16, v3
	s_waitcnt vmcnt(0)
	v_lshlrev_b32_e32 v4, 16, v7
	v_add_f32_e32 v3, v3, v4
	v_cvt_pk_bf16_f32 v3, v3, s0
	v_lshlrev_b32_e32 v4, 16, v3
	v_add_f32_e32 v5, 0, v4
.LBB18_2:
	s_or_b64 exec, exec, s[2:3]
	v_mbcnt_lo_u32_b32 v3, -1, 0
	v_mbcnt_hi_u32_b32 v9, -1, v3
	v_and_b32_e32 v3, 64, v9
	v_add_u32_e32 v10, 64, v3
	v_xor_b32_e32 v3, 32, v9
	v_cmp_lt_i32_e32 vcc, v3, v10
	v_xor_b32_e32 v7, 16, v9
	v_xor_b32_e32 v8, 8, v9
	v_cndmask_b32_e32 v3, v9, v3, vcc
	v_lshlrev_b32_e32 v3, 2, v3
	ds_bpermute_b32 v6, v3, v5
	v_cmp_lt_i32_e32 vcc, v7, v10
	v_xor_b32_e32 v11, 4, v9
	v_xor_b32_e32 v12, 2, v9
	;; [unrolled: 1-line block ×3, first 2 shown]
	s_waitcnt lgkmcnt(0)
	v_add_f32_e32 v6, v5, v6
	v_cndmask_b32_e32 v5, v9, v7, vcc
	v_lshlrev_b32_e32 v5, 2, v5
	ds_bpermute_b32 v7, v5, v6
	v_cmp_lt_i32_e32 vcc, v8, v10
	s_waitcnt lgkmcnt(0)
	v_add_f32_e32 v7, v6, v7
	v_cndmask_b32_e32 v6, v9, v8, vcc
	v_lshlrev_b32_e32 v6, 2, v6
	ds_bpermute_b32 v8, v6, v7
	v_cmp_lt_i32_e32 vcc, v11, v10
	;; [unrolled: 6-line block ×4, first 2 shown]
	v_and_b32_e32 v10, 63, v0
	v_cmp_eq_u32_e64 s[4:5], 0, v10
	v_cndmask_b32_e32 v9, v9, v13, vcc
	s_waitcnt lgkmcnt(0)
	v_add_f32_e32 v12, v11, v12
	v_lshlrev_b32_e32 v9, 2, v9
	ds_bpermute_b32 v13, v9, v12
	v_lshrrev_b32_e32 v11, 4, v0
	s_and_saveexec_b64 s[2:3], s[4:5]
	s_cbranch_execz .LBB18_4
; %bb.3:
	s_waitcnt lgkmcnt(0)
	v_add_f32_e32 v12, v12, v13
	ds_write_b32 v11, v12
.LBB18_4:
	s_or_b64 exec, exec, s[2:3]
	s_waitcnt lgkmcnt(0)
	s_barrier
	s_load_dword s2, s[0:1], 0x3c
	v_mov_b32_e32 v13, 0
	v_lshlrev_b32_e32 v12, 2, v10
	s_waitcnt lgkmcnt(0)
	s_bfe_u32 s2, s2, 0xa0006
	v_cmp_gt_u32_e64 s[6:7], s2, v0
	s_and_saveexec_b64 s[2:3], s[6:7]
; %bb.5:
	ds_read_b32 v13, v12
; %bb.6:
	s_or_b64 exec, exec, s[2:3]
	s_waitcnt lgkmcnt(0)
	ds_bpermute_b32 v10, v3, v13
	v_cmp_eq_u32_e64 s[8:9], 0, v0
	s_waitcnt lgkmcnt(0)
	v_add_f32_e32 v10, v13, v10
	ds_bpermute_b32 v13, v5, v10
	s_waitcnt lgkmcnt(0)
	v_add_f32_e32 v10, v10, v13
	ds_bpermute_b32 v13, v6, v10
	;; [unrolled: 3-line block ×5, first 2 shown]
	v_cvt_f32_i32_e32 v10, s15
	s_and_saveexec_b64 s[2:3], s[8:9]
	s_cbranch_execz .LBB18_8
; %bb.7:
	s_waitcnt lgkmcnt(0)
	v_add_f32_e32 v0, v13, v14
	v_div_scale_f32 v13, s[16:17], v10, v10, v0
	v_rcp_f32_e32 v14, v13
	v_div_scale_f32 v15, vcc, v0, v10, v0
	v_fma_f32 v16, -v13, v14, 1.0
	v_fmac_f32_e32 v14, v16, v14
	v_mul_f32_e32 v16, v15, v14
	v_fma_f32 v17, -v13, v16, v15
	v_fmac_f32_e32 v16, v17, v14
	v_fma_f32 v13, -v13, v16, v15
	v_div_fmas_f32 v13, v13, v14, v16
	v_div_fixup_f32 v0, v13, v10, v0
	v_mov_b32_e32 v13, 0
	ds_write_b32 v13, v0 offset:68
.LBB18_8:
	s_or_b64 exec, exec, s[2:3]
	v_mov_b32_e32 v0, 0
	s_waitcnt lgkmcnt(0)
	s_barrier
	ds_read_b32 v13, v0 offset:68
	s_waitcnt lgkmcnt(0)
	v_sub_f32_e32 v13, v4, v13
	v_mul_f32_e32 v13, v13, v13
	v_cndmask_b32_e64 v13, 0, v13, s[10:11]
	ds_bpermute_b32 v14, v3, v13
	s_waitcnt lgkmcnt(0)
	v_add_f32_e32 v13, v13, v14
	ds_bpermute_b32 v14, v5, v13
	s_waitcnt lgkmcnt(0)
	v_add_f32_e32 v13, v13, v14
	;; [unrolled: 3-line block ×5, first 2 shown]
	ds_bpermute_b32 v14, v9, v13
	s_and_saveexec_b64 s[2:3], s[4:5]
	s_cbranch_execz .LBB18_10
; %bb.9:
	s_waitcnt lgkmcnt(0)
	v_add_f32_e32 v13, v13, v14
	ds_write_b32 v11, v13
.LBB18_10:
	s_or_b64 exec, exec, s[2:3]
	s_waitcnt lgkmcnt(0)
	s_barrier
	s_and_saveexec_b64 s[2:3], s[6:7]
; %bb.11:
	ds_read_b32 v0, v12
; %bb.12:
	s_or_b64 exec, exec, s[2:3]
	s_waitcnt lgkmcnt(0)
	ds_bpermute_b32 v3, v3, v0
	s_waitcnt lgkmcnt(0)
	v_add_f32_e32 v0, v0, v3
	ds_bpermute_b32 v3, v5, v0
	s_waitcnt lgkmcnt(0)
	v_add_f32_e32 v0, v0, v3
	;; [unrolled: 3-line block ×5, first 2 shown]
	ds_bpermute_b32 v3, v9, v0
	s_and_saveexec_b64 s[2:3], s[8:9]
	s_cbranch_execz .LBB18_14
; %bb.13:
	s_waitcnt lgkmcnt(0)
	v_add_f32_e32 v0, v0, v3
	v_div_scale_f32 v3, s[4:5], v10, v10, v0
	v_rcp_f32_e32 v5, v3
	v_div_scale_f32 v6, vcc, v0, v10, v0
	v_fma_f32 v7, -v3, v5, 1.0
	v_fmac_f32_e32 v5, v7, v5
	v_mul_f32_e32 v7, v6, v5
	v_fma_f32 v8, -v3, v7, v6
	v_fmac_f32_e32 v7, v8, v5
	v_fma_f32 v3, -v3, v7, v6
	v_div_fmas_f32 v3, v3, v5, v7
	v_div_fixup_f32 v0, v3, v10, v0
	v_add_f32_e32 v0, s14, v0
	v_mov_b32_e32 v3, 0
	ds_write_b32 v3, v0 offset:64
.LBB18_14:
	s_or_b64 exec, exec, s[2:3]
	s_waitcnt lgkmcnt(0)
	s_barrier
	s_and_saveexec_b64 s[2:3], s[10:11]
	s_cbranch_execz .LBB18_16
; %bb.15:
	s_load_dwordx4 s[4:7], s[0:1], 0x18
	v_mov_b32_e32 v3, 0
	s_mov_b32 s0, 0x800000
	s_waitcnt lgkmcnt(0)
	global_load_ushort v5, v1, s[4:5]
	global_load_ushort v6, v1, s[6:7]
	ds_read_b64 v[0:1], v3 offset:64
	s_waitcnt lgkmcnt(0)
	v_mul_f32_e32 v7, 0x4b800000, v0
	v_cmp_gt_f32_e32 vcc, s0, v0
	v_sub_f32_e32 v1, v4, v1
	s_nop 0
	v_cndmask_b32_e32 v0, v0, v7, vcc
	v_rsq_f32_e32 v0, v0
	s_nop 0
	v_mul_f32_e32 v4, 0x45800000, v0
	v_cndmask_b32_e32 v0, v0, v4, vcc
	v_mul_f32_e32 v0, v1, v0
	s_waitcnt vmcnt(1)
	v_lshlrev_b32_e32 v1, 16, v5
	s_waitcnt vmcnt(0)
	v_lshlrev_b32_e32 v4, 16, v6
	v_fmac_f32_e32 v4, v0, v1
	v_cvt_pk_bf16_f32 v4, v4, s0
	v_lshl_add_u64 v[0:1], v[2:3], 1, s[12:13]
	global_store_short v[0:1], v4, off
.LBB18_16:
	s_endpgm
	.section	.rodata,"a",@progbits
	.p2align	6, 0x0
	.amdhsa_kernel _Z28addBiasResidualPostLayerNormI14__hip_bfloat16Li1ELi64EEvPT_PKS1_S4_S4_S4_fi
		.amdhsa_group_segment_fixed_size 72
		.amdhsa_private_segment_fixed_size 0
		.amdhsa_kernarg_size 304
		.amdhsa_user_sgpr_count 2
		.amdhsa_user_sgpr_dispatch_ptr 0
		.amdhsa_user_sgpr_queue_ptr 0
		.amdhsa_user_sgpr_kernarg_segment_ptr 1
		.amdhsa_user_sgpr_dispatch_id 0
		.amdhsa_user_sgpr_kernarg_preload_length 0
		.amdhsa_user_sgpr_kernarg_preload_offset 0
		.amdhsa_user_sgpr_private_segment_size 0
		.amdhsa_uses_dynamic_stack 0
		.amdhsa_enable_private_segment 0
		.amdhsa_system_sgpr_workgroup_id_x 1
		.amdhsa_system_sgpr_workgroup_id_y 0
		.amdhsa_system_sgpr_workgroup_id_z 0
		.amdhsa_system_sgpr_workgroup_info 0
		.amdhsa_system_vgpr_workitem_id 0
		.amdhsa_next_free_vgpr 18
		.amdhsa_next_free_sgpr 18
		.amdhsa_accum_offset 20
		.amdhsa_reserve_vcc 1
		.amdhsa_float_round_mode_32 0
		.amdhsa_float_round_mode_16_64 0
		.amdhsa_float_denorm_mode_32 3
		.amdhsa_float_denorm_mode_16_64 3
		.amdhsa_dx10_clamp 1
		.amdhsa_ieee_mode 1
		.amdhsa_fp16_overflow 0
		.amdhsa_tg_split 0
		.amdhsa_exception_fp_ieee_invalid_op 0
		.amdhsa_exception_fp_denorm_src 0
		.amdhsa_exception_fp_ieee_div_zero 0
		.amdhsa_exception_fp_ieee_overflow 0
		.amdhsa_exception_fp_ieee_underflow 0
		.amdhsa_exception_fp_ieee_inexact 0
		.amdhsa_exception_int_div_zero 0
	.end_amdhsa_kernel
	.section	.text._Z28addBiasResidualPostLayerNormI14__hip_bfloat16Li1ELi64EEvPT_PKS1_S4_S4_S4_fi,"axG",@progbits,_Z28addBiasResidualPostLayerNormI14__hip_bfloat16Li1ELi64EEvPT_PKS1_S4_S4_S4_fi,comdat
.Lfunc_end18:
	.size	_Z28addBiasResidualPostLayerNormI14__hip_bfloat16Li1ELi64EEvPT_PKS1_S4_S4_S4_fi, .Lfunc_end18-_Z28addBiasResidualPostLayerNormI14__hip_bfloat16Li1ELi64EEvPT_PKS1_S4_S4_S4_fi
                                        ; -- End function
	.set _Z28addBiasResidualPostLayerNormI14__hip_bfloat16Li1ELi64EEvPT_PKS1_S4_S4_S4_fi.num_vgpr, 18
	.set _Z28addBiasResidualPostLayerNormI14__hip_bfloat16Li1ELi64EEvPT_PKS1_S4_S4_S4_fi.num_agpr, 0
	.set _Z28addBiasResidualPostLayerNormI14__hip_bfloat16Li1ELi64EEvPT_PKS1_S4_S4_S4_fi.numbered_sgpr, 18
	.set _Z28addBiasResidualPostLayerNormI14__hip_bfloat16Li1ELi64EEvPT_PKS1_S4_S4_S4_fi.num_named_barrier, 0
	.set _Z28addBiasResidualPostLayerNormI14__hip_bfloat16Li1ELi64EEvPT_PKS1_S4_S4_S4_fi.private_seg_size, 0
	.set _Z28addBiasResidualPostLayerNormI14__hip_bfloat16Li1ELi64EEvPT_PKS1_S4_S4_S4_fi.uses_vcc, 1
	.set _Z28addBiasResidualPostLayerNormI14__hip_bfloat16Li1ELi64EEvPT_PKS1_S4_S4_S4_fi.uses_flat_scratch, 0
	.set _Z28addBiasResidualPostLayerNormI14__hip_bfloat16Li1ELi64EEvPT_PKS1_S4_S4_S4_fi.has_dyn_sized_stack, 0
	.set _Z28addBiasResidualPostLayerNormI14__hip_bfloat16Li1ELi64EEvPT_PKS1_S4_S4_S4_fi.has_recursion, 0
	.set _Z28addBiasResidualPostLayerNormI14__hip_bfloat16Li1ELi64EEvPT_PKS1_S4_S4_S4_fi.has_indirect_call, 0
	.section	.AMDGPU.csdata,"",@progbits
; Kernel info:
; codeLenInByte = 1244
; TotalNumSgprs: 24
; NumVgprs: 18
; NumAgprs: 0
; TotalNumVgprs: 18
; ScratchSize: 0
; MemoryBound: 0
; FloatMode: 240
; IeeeMode: 1
; LDSByteSize: 72 bytes/workgroup (compile time only)
; SGPRBlocks: 2
; VGPRBlocks: 2
; NumSGPRsForWavesPerEU: 24
; NumVGPRsForWavesPerEU: 18
; AccumOffset: 20
; Occupancy: 8
; WaveLimiterHint : 0
; COMPUTE_PGM_RSRC2:SCRATCH_EN: 0
; COMPUTE_PGM_RSRC2:USER_SGPR: 2
; COMPUTE_PGM_RSRC2:TRAP_HANDLER: 0
; COMPUTE_PGM_RSRC2:TGID_X_EN: 1
; COMPUTE_PGM_RSRC2:TGID_Y_EN: 0
; COMPUTE_PGM_RSRC2:TGID_Z_EN: 0
; COMPUTE_PGM_RSRC2:TIDIG_COMP_CNT: 0
; COMPUTE_PGM_RSRC3_GFX90A:ACCUM_OFFSET: 4
; COMPUTE_PGM_RSRC3_GFX90A:TG_SPLIT: 0
	.section	.text._Z28addBiasResidualPostLayerNormI14__hip_bfloat16Li2ELi64EEvPT_PKS1_S4_S4_S4_fi,"axG",@progbits,_Z28addBiasResidualPostLayerNormI14__hip_bfloat16Li2ELi64EEvPT_PKS1_S4_S4_S4_fi,comdat
	.protected	_Z28addBiasResidualPostLayerNormI14__hip_bfloat16Li2ELi64EEvPT_PKS1_S4_S4_S4_fi ; -- Begin function _Z28addBiasResidualPostLayerNormI14__hip_bfloat16Li2ELi64EEvPT_PKS1_S4_S4_S4_fi
	.globl	_Z28addBiasResidualPostLayerNormI14__hip_bfloat16Li2ELi64EEvPT_PKS1_S4_S4_S4_fi
	.p2align	8
	.type	_Z28addBiasResidualPostLayerNormI14__hip_bfloat16Li2ELi64EEvPT_PKS1_S4_S4_S4_fi,@function
_Z28addBiasResidualPostLayerNormI14__hip_bfloat16Li2ELi64EEvPT_PKS1_S4_S4_S4_fi: ; @_Z28addBiasResidualPostLayerNormI14__hip_bfloat16Li2ELi64EEvPT_PKS1_S4_S4_S4_fi
; %bb.0:
	s_load_dwordx2 s[14:15], s[0:1], 0x28
	s_load_dwordx2 s[12:13], s[0:1], 0x0
	v_mov_b32_e32 v7, 0
	v_lshlrev_b32_e32 v4, 1, v0
	v_mov_b32_e32 v6, 0
	s_waitcnt lgkmcnt(0)
	s_mul_i32 s16, s15, s2
	v_cmp_gt_i32_e64 s[10:11], s15, v0
	v_add_u32_e32 v2, s16, v0
	v_mov_b32_e32 v3, v7
	s_and_saveexec_b64 s[2:3], s[10:11]
	s_cbranch_execz .LBB19_4
; %bb.1:
	s_load_dwordx4 s[4:7], s[0:1], 0x8
	s_load_dword s8, s[0:1], 0x3c
	v_mov_b32_e32 v3, 0
	v_lshlrev_b64 v[6:7], 1, v[2:3]
	v_lshl_add_u64 v[8:9], s[12:13], 0, v[6:7]
	global_load_ushort v5, v[8:9], off
	s_waitcnt lgkmcnt(0)
	v_lshl_add_u64 v[6:7], s[4:5], 0, v[6:7]
	global_load_ushort v8, v4, s[6:7]
	global_load_ushort v9, v[6:7], off
	s_and_b32 s17, s8, 0xffff
	v_add_u32_e32 v1, s17, v0
	v_cmp_gt_u32_e32 vcc, s15, v1
	s_waitcnt vmcnt(2)
	v_lshlrev_b32_e32 v5, 16, v5
	s_waitcnt vmcnt(1)
	v_lshlrev_b32_e32 v6, 16, v8
	;; [unrolled: 2-line block ×3, first 2 shown]
	v_add_f32_e32 v5, v5, v7
	v_cvt_pk_bf16_f32 v5, v5, s0
	v_lshlrev_b32_e32 v5, 16, v5
	v_add_f32_e32 v5, v5, v6
	v_cvt_pk_bf16_f32 v5, v5, s0
	v_lshlrev_b32_e32 v6, 16, v5
	v_add_f32_e32 v7, 0, v6
	s_and_saveexec_b64 s[8:9], vcc
	s_cbranch_execz .LBB19_3
; %bb.2:
	v_add_u32_e32 v10, s16, v1
	v_mov_b32_e32 v11, v3
	v_lshlrev_b64 v[10:11], 1, v[10:11]
	v_lshl_add_u64 v[12:13], s[12:13], 0, v[10:11]
	v_lshl_add_u64 v[10:11], s[4:5], 0, v[10:11]
	v_mov_b32_e32 v5, v3
	global_load_ushort v1, v[10:11], off
	global_load_ushort v3, v[12:13], off
	v_lshl_add_u64 v[8:9], s[6:7], 0, v[4:5]
	s_mov_b32 s5, 0
	s_lshl_b32 s4, s17, 1
	v_lshl_add_u64 v[8:9], v[8:9], 0, s[4:5]
	global_load_ushort v5, v[8:9], off
	s_waitcnt vmcnt(2)
	v_lshlrev_b32_e32 v1, 16, v1
	s_waitcnt vmcnt(1)
	v_lshlrev_b32_e32 v3, 16, v3
	v_add_f32_e32 v1, v3, v1
	v_cvt_pk_bf16_f32 v1, v1, s0
	v_lshlrev_b32_e32 v1, 16, v1
	s_waitcnt vmcnt(0)
	v_lshlrev_b32_e32 v3, 16, v5
	v_add_f32_e32 v1, v1, v3
	v_cvt_pk_bf16_f32 v1, v1, s0
	v_lshlrev_b32_e32 v3, 16, v1
	v_add_f32_e32 v7, v7, v3
.LBB19_3:
	s_or_b64 exec, exec, s[8:9]
.LBB19_4:
	s_or_b64 exec, exec, s[2:3]
	v_mbcnt_lo_u32_b32 v1, -1, 0
	v_mbcnt_hi_u32_b32 v12, -1, v1
	v_and_b32_e32 v1, 64, v12
	v_add_u32_e32 v13, 64, v1
	v_xor_b32_e32 v1, 32, v12
	v_cmp_lt_i32_e32 vcc, v1, v13
	v_xor_b32_e32 v8, 16, v12
	v_xor_b32_e32 v9, 8, v12
	v_cndmask_b32_e32 v1, v12, v1, vcc
	v_lshlrev_b32_e32 v1, 2, v1
	ds_bpermute_b32 v5, v1, v7
	v_cmp_lt_i32_e32 vcc, v8, v13
	v_xor_b32_e32 v10, 4, v12
	v_xor_b32_e32 v11, 2, v12
	;; [unrolled: 1-line block ×3, first 2 shown]
	s_waitcnt lgkmcnt(0)
	v_add_f32_e32 v7, v7, v5
	v_cndmask_b32_e32 v5, v12, v8, vcc
	v_lshlrev_b32_e32 v5, 2, v5
	ds_bpermute_b32 v8, v5, v7
	v_cmp_lt_i32_e32 vcc, v9, v13
	s_waitcnt lgkmcnt(0)
	v_add_f32_e32 v7, v7, v8
	v_cndmask_b32_e32 v8, v12, v9, vcc
	v_lshlrev_b32_e32 v8, 2, v8
	ds_bpermute_b32 v9, v8, v7
	v_cmp_lt_i32_e32 vcc, v10, v13
	;; [unrolled: 6-line block ×4, first 2 shown]
	s_waitcnt lgkmcnt(0)
	v_add_f32_e32 v10, v7, v10
	v_cndmask_b32_e32 v7, v12, v14, vcc
	v_lshlrev_b32_e32 v12, 2, v7
	ds_bpermute_b32 v13, v12, v10
	v_and_b32_e32 v7, 63, v0
	v_cmp_eq_u32_e64 s[4:5], 0, v7
	v_lshrrev_b32_e32 v14, 4, v0
	s_and_saveexec_b64 s[2:3], s[4:5]
	s_cbranch_execz .LBB19_6
; %bb.5:
	s_waitcnt lgkmcnt(0)
	v_add_f32_e32 v10, v10, v13
	ds_write_b32 v14, v10
.LBB19_6:
	s_or_b64 exec, exec, s[2:3]
	s_waitcnt lgkmcnt(0)
	s_barrier
	s_load_dword s17, s[0:1], 0x3c
	v_mov_b32_e32 v10, 0
	v_lshlrev_b32_e32 v15, 2, v7
	s_waitcnt lgkmcnt(0)
	s_bfe_u32 s2, s17, 0xa0006
	v_cmp_gt_u32_e64 s[6:7], s2, v0
	s_and_saveexec_b64 s[2:3], s[6:7]
; %bb.7:
	ds_read_b32 v10, v15
; %bb.8:
	s_or_b64 exec, exec, s[2:3]
	s_waitcnt lgkmcnt(0)
	ds_bpermute_b32 v7, v1, v10
	v_cvt_f32_i32_e32 v13, s15
	v_cmp_eq_u32_e64 s[8:9], 0, v0
	s_waitcnt lgkmcnt(0)
	v_add_f32_e32 v7, v10, v7
	ds_bpermute_b32 v10, v5, v7
	s_waitcnt lgkmcnt(0)
	v_add_f32_e32 v7, v7, v10
	ds_bpermute_b32 v10, v8, v7
	;; [unrolled: 3-line block ×5, first 2 shown]
	s_and_saveexec_b64 s[2:3], s[8:9]
	s_cbranch_execz .LBB19_10
; %bb.9:
	s_waitcnt lgkmcnt(0)
	v_add_f32_e32 v7, v7, v10
	v_div_scale_f32 v10, s[18:19], v13, v13, v7
	v_rcp_f32_e32 v16, v10
	v_div_scale_f32 v17, vcc, v7, v13, v7
	v_fma_f32 v18, -v10, v16, 1.0
	v_fmac_f32_e32 v16, v18, v16
	v_mul_f32_e32 v18, v17, v16
	v_fma_f32 v19, -v10, v18, v17
	v_fmac_f32_e32 v18, v19, v16
	v_fma_f32 v10, -v10, v18, v17
	v_div_fmas_f32 v10, v10, v16, v18
	v_div_fixup_f32 v7, v10, v13, v7
	v_mov_b32_e32 v10, 0
	ds_write_b32 v10, v7 offset:68
.LBB19_10:
	s_or_b64 exec, exec, s[2:3]
	s_and_b32 s17, 0xffff, s17
	v_mov_b32_e32 v7, 0
	s_waitcnt lgkmcnt(0)
	v_add_u32_e32 v10, s17, v0
	s_barrier
	s_and_saveexec_b64 s[2:3], s[10:11]
	s_cbranch_execz .LBB19_12
; %bb.11:
	v_mov_b32_e32 v0, 0
	ds_read_b32 v0, v0 offset:68
	v_mov_b32_e32 v7, v3
	v_cmp_gt_u32_e32 vcc, s15, v10
	s_waitcnt lgkmcnt(0)
	v_pk_add_f32 v[16:17], v[6:7], v[0:1] op_sel_hi:[1,0] neg_lo:[0,1] neg_hi:[0,1]
	s_nop 0
	v_pk_mul_f32 v[16:17], v[16:17], v[16:17]
	s_nop 0
	v_add_f32_e32 v0, v16, v17
	v_cndmask_b32_e32 v7, v16, v0, vcc
.LBB19_12:
	s_or_b64 exec, exec, s[2:3]
	ds_bpermute_b32 v0, v1, v7
	s_waitcnt lgkmcnt(0)
	v_add_f32_e32 v0, v7, v0
	ds_bpermute_b32 v7, v5, v0
	s_waitcnt lgkmcnt(0)
	v_add_f32_e32 v0, v0, v7
	;; [unrolled: 3-line block ×5, first 2 shown]
	ds_bpermute_b32 v7, v12, v0
	s_and_saveexec_b64 s[2:3], s[4:5]
	s_cbranch_execz .LBB19_14
; %bb.13:
	s_waitcnt lgkmcnt(0)
	v_add_f32_e32 v0, v0, v7
	ds_write_b32 v14, v0
.LBB19_14:
	s_or_b64 exec, exec, s[2:3]
	v_mov_b32_e32 v0, 0
	s_waitcnt lgkmcnt(0)
	s_barrier
	s_and_saveexec_b64 s[2:3], s[6:7]
; %bb.15:
	ds_read_b32 v0, v15
; %bb.16:
	s_or_b64 exec, exec, s[2:3]
	s_waitcnt lgkmcnt(0)
	ds_bpermute_b32 v1, v1, v0
	s_waitcnt lgkmcnt(0)
	v_add_f32_e32 v0, v0, v1
	ds_bpermute_b32 v1, v5, v0
	s_waitcnt lgkmcnt(0)
	v_add_f32_e32 v0, v0, v1
	;; [unrolled: 3-line block ×5, first 2 shown]
	ds_bpermute_b32 v1, v12, v0
	s_and_saveexec_b64 s[2:3], s[8:9]
	s_cbranch_execz .LBB19_18
; %bb.17:
	s_waitcnt lgkmcnt(0)
	v_add_f32_e32 v0, v0, v1
	v_div_scale_f32 v1, s[4:5], v13, v13, v0
	v_rcp_f32_e32 v5, v1
	v_div_scale_f32 v7, vcc, v0, v13, v0
	v_fma_f32 v8, -v1, v5, 1.0
	v_fmac_f32_e32 v5, v8, v5
	v_mul_f32_e32 v8, v7, v5
	v_fma_f32 v9, -v1, v8, v7
	v_fmac_f32_e32 v8, v9, v5
	v_fma_f32 v1, -v1, v8, v7
	v_div_fmas_f32 v1, v1, v5, v8
	v_div_fixup_f32 v0, v1, v13, v0
	v_add_f32_e32 v0, s14, v0
	v_mov_b32_e32 v1, 0
	ds_write_b32 v1, v0 offset:64
.LBB19_18:
	s_or_b64 exec, exec, s[2:3]
	s_waitcnt lgkmcnt(0)
	s_barrier
	s_and_saveexec_b64 s[2:3], s[10:11]
	s_cbranch_execz .LBB19_21
; %bb.19:
	s_load_dwordx4 s[4:7], s[0:1], 0x18
	v_mov_b32_e32 v1, 0
	s_mov_b32 s0, 0x800000
	s_waitcnt lgkmcnt(0)
	global_load_ushort v5, v4, s[4:5]
	global_load_ushort v7, v4, s[6:7]
	ds_read_b64 v[8:9], v1 offset:64
	s_waitcnt lgkmcnt(0)
	v_mul_f32_e32 v0, 0x4b800000, v8
	v_cmp_gt_f32_e32 vcc, s0, v8
	s_waitcnt vmcnt(1)
	v_lshlrev_b32_e32 v5, 16, v5
	v_cndmask_b32_e32 v0, v8, v0, vcc
	v_rsq_f32_e32 v8, v0
	v_mov_b32_e32 v0, v2
	v_lshl_add_u64 v[12:13], v[0:1], 1, s[12:13]
	v_sub_f32_e32 v0, v6, v9
	v_mul_f32_e32 v2, 0x45800000, v8
	v_cndmask_b32_e32 v2, v8, v2, vcc
	v_mul_f32_e32 v0, v0, v2
	s_waitcnt vmcnt(0)
	v_lshlrev_b32_e32 v6, 16, v7
	v_fmac_f32_e32 v6, v0, v5
	v_cvt_pk_bf16_f32 v0, v6, s0
	v_cmp_gt_u32_e32 vcc, s15, v10
	global_store_short v[12:13], v0, off
	s_and_b64 exec, exec, vcc
	s_cbranch_execz .LBB19_21
; %bb.20:
	v_mov_b32_e32 v5, v1
	v_lshl_add_u64 v[6:7], s[4:5], 0, v[4:5]
	v_lshl_add_u64 v[4:5], s[6:7], 0, v[4:5]
	s_lshl_b32 s0, s17, 1
	s_mov_b32 s1, 0
	v_lshl_add_u64 v[6:7], v[6:7], 0, s[0:1]
	v_lshl_add_u64 v[4:5], v[4:5], 0, s[0:1]
	global_load_ushort v6, v[6:7], off
	v_sub_f32_e32 v3, v3, v9
	global_load_ushort v4, v[4:5], off
	v_mul_f32_e32 v2, v3, v2
	v_add_u32_e32 v0, s16, v10
	v_lshl_add_u64 v[0:1], v[0:1], 1, s[12:13]
	s_waitcnt vmcnt(1)
	v_lshlrev_b32_e32 v3, 16, v6
	s_waitcnt vmcnt(0)
	v_lshlrev_b32_e32 v4, 16, v4
	v_fmac_f32_e32 v4, v2, v3
	v_cvt_pk_bf16_f32 v2, v4, s0
	global_store_short v[0:1], v2, off
.LBB19_21:
	s_endpgm
	.section	.rodata,"a",@progbits
	.p2align	6, 0x0
	.amdhsa_kernel _Z28addBiasResidualPostLayerNormI14__hip_bfloat16Li2ELi64EEvPT_PKS1_S4_S4_S4_fi
		.amdhsa_group_segment_fixed_size 72
		.amdhsa_private_segment_fixed_size 0
		.amdhsa_kernarg_size 304
		.amdhsa_user_sgpr_count 2
		.amdhsa_user_sgpr_dispatch_ptr 0
		.amdhsa_user_sgpr_queue_ptr 0
		.amdhsa_user_sgpr_kernarg_segment_ptr 1
		.amdhsa_user_sgpr_dispatch_id 0
		.amdhsa_user_sgpr_kernarg_preload_length 0
		.amdhsa_user_sgpr_kernarg_preload_offset 0
		.amdhsa_user_sgpr_private_segment_size 0
		.amdhsa_uses_dynamic_stack 0
		.amdhsa_enable_private_segment 0
		.amdhsa_system_sgpr_workgroup_id_x 1
		.amdhsa_system_sgpr_workgroup_id_y 0
		.amdhsa_system_sgpr_workgroup_id_z 0
		.amdhsa_system_sgpr_workgroup_info 0
		.amdhsa_system_vgpr_workitem_id 0
		.amdhsa_next_free_vgpr 20
		.amdhsa_next_free_sgpr 20
		.amdhsa_accum_offset 20
		.amdhsa_reserve_vcc 1
		.amdhsa_float_round_mode_32 0
		.amdhsa_float_round_mode_16_64 0
		.amdhsa_float_denorm_mode_32 3
		.amdhsa_float_denorm_mode_16_64 3
		.amdhsa_dx10_clamp 1
		.amdhsa_ieee_mode 1
		.amdhsa_fp16_overflow 0
		.amdhsa_tg_split 0
		.amdhsa_exception_fp_ieee_invalid_op 0
		.amdhsa_exception_fp_denorm_src 0
		.amdhsa_exception_fp_ieee_div_zero 0
		.amdhsa_exception_fp_ieee_overflow 0
		.amdhsa_exception_fp_ieee_underflow 0
		.amdhsa_exception_fp_ieee_inexact 0
		.amdhsa_exception_int_div_zero 0
	.end_amdhsa_kernel
	.section	.text._Z28addBiasResidualPostLayerNormI14__hip_bfloat16Li2ELi64EEvPT_PKS1_S4_S4_S4_fi,"axG",@progbits,_Z28addBiasResidualPostLayerNormI14__hip_bfloat16Li2ELi64EEvPT_PKS1_S4_S4_S4_fi,comdat
.Lfunc_end19:
	.size	_Z28addBiasResidualPostLayerNormI14__hip_bfloat16Li2ELi64EEvPT_PKS1_S4_S4_S4_fi, .Lfunc_end19-_Z28addBiasResidualPostLayerNormI14__hip_bfloat16Li2ELi64EEvPT_PKS1_S4_S4_S4_fi
                                        ; -- End function
	.set _Z28addBiasResidualPostLayerNormI14__hip_bfloat16Li2ELi64EEvPT_PKS1_S4_S4_S4_fi.num_vgpr, 20
	.set _Z28addBiasResidualPostLayerNormI14__hip_bfloat16Li2ELi64EEvPT_PKS1_S4_S4_S4_fi.num_agpr, 0
	.set _Z28addBiasResidualPostLayerNormI14__hip_bfloat16Li2ELi64EEvPT_PKS1_S4_S4_S4_fi.numbered_sgpr, 20
	.set _Z28addBiasResidualPostLayerNormI14__hip_bfloat16Li2ELi64EEvPT_PKS1_S4_S4_S4_fi.num_named_barrier, 0
	.set _Z28addBiasResidualPostLayerNormI14__hip_bfloat16Li2ELi64EEvPT_PKS1_S4_S4_S4_fi.private_seg_size, 0
	.set _Z28addBiasResidualPostLayerNormI14__hip_bfloat16Li2ELi64EEvPT_PKS1_S4_S4_S4_fi.uses_vcc, 1
	.set _Z28addBiasResidualPostLayerNormI14__hip_bfloat16Li2ELi64EEvPT_PKS1_S4_S4_S4_fi.uses_flat_scratch, 0
	.set _Z28addBiasResidualPostLayerNormI14__hip_bfloat16Li2ELi64EEvPT_PKS1_S4_S4_S4_fi.has_dyn_sized_stack, 0
	.set _Z28addBiasResidualPostLayerNormI14__hip_bfloat16Li2ELi64EEvPT_PKS1_S4_S4_S4_fi.has_recursion, 0
	.set _Z28addBiasResidualPostLayerNormI14__hip_bfloat16Li2ELi64EEvPT_PKS1_S4_S4_S4_fi.has_indirect_call, 0
	.section	.AMDGPU.csdata,"",@progbits
; Kernel info:
; codeLenInByte = 1612
; TotalNumSgprs: 26
; NumVgprs: 20
; NumAgprs: 0
; TotalNumVgprs: 20
; ScratchSize: 0
; MemoryBound: 0
; FloatMode: 240
; IeeeMode: 1
; LDSByteSize: 72 bytes/workgroup (compile time only)
; SGPRBlocks: 3
; VGPRBlocks: 2
; NumSGPRsForWavesPerEU: 26
; NumVGPRsForWavesPerEU: 20
; AccumOffset: 20
; Occupancy: 8
; WaveLimiterHint : 0
; COMPUTE_PGM_RSRC2:SCRATCH_EN: 0
; COMPUTE_PGM_RSRC2:USER_SGPR: 2
; COMPUTE_PGM_RSRC2:TRAP_HANDLER: 0
; COMPUTE_PGM_RSRC2:TGID_X_EN: 1
; COMPUTE_PGM_RSRC2:TGID_Y_EN: 0
; COMPUTE_PGM_RSRC2:TGID_Z_EN: 0
; COMPUTE_PGM_RSRC2:TIDIG_COMP_CNT: 0
; COMPUTE_PGM_RSRC3_GFX90A:ACCUM_OFFSET: 4
; COMPUTE_PGM_RSRC3_GFX90A:TG_SPLIT: 0
	.section	.text._Z35generalAddBiasResidualPostLayerNormI14__hip_bfloat16Li64EEvPT_PKS1_S4_S4_S4_fi,"axG",@progbits,_Z35generalAddBiasResidualPostLayerNormI14__hip_bfloat16Li64EEvPT_PKS1_S4_S4_S4_fi,comdat
	.protected	_Z35generalAddBiasResidualPostLayerNormI14__hip_bfloat16Li64EEvPT_PKS1_S4_S4_S4_fi ; -- Begin function _Z35generalAddBiasResidualPostLayerNormI14__hip_bfloat16Li64EEvPT_PKS1_S4_S4_S4_fi
	.globl	_Z35generalAddBiasResidualPostLayerNormI14__hip_bfloat16Li64EEvPT_PKS1_S4_S4_S4_fi
	.p2align	8
	.type	_Z35generalAddBiasResidualPostLayerNormI14__hip_bfloat16Li64EEvPT_PKS1_S4_S4_S4_fi,@function
_Z35generalAddBiasResidualPostLayerNormI14__hip_bfloat16Li64EEvPT_PKS1_S4_S4_S4_fi: ; @_Z35generalAddBiasResidualPostLayerNormI14__hip_bfloat16Li64EEvPT_PKS1_S4_S4_S4_fi
; %bb.0:
	s_load_dwordx2 s[16:17], s[0:1], 0x28
	s_load_dwordx2 s[10:11], s[0:1], 0x0
	v_mov_b32_e32 v3, 0
	s_waitcnt lgkmcnt(0)
	s_lshr_b32 s3, s17, 31
	s_add_i32 s3, s17, s3
	s_ashr_i32 s20, s3, 1
	v_cmp_gt_i32_e64 s[8:9], s20, v0
	s_mul_i32 s21, s17, s2
	s_and_saveexec_b64 s[2:3], s[8:9]
	s_cbranch_execz .LBB20_4
; %bb.1:
	s_load_dword s12, s[0:1], 0x3c
	s_load_dwordx4 s[4:7], s[0:1], 0x8
	v_lshlrev_b32_e32 v2, 2, v0
	v_mov_b32_e32 v3, 0
	s_lshr_b32 s14, s21, 1
	s_waitcnt lgkmcnt(0)
	s_and_b32 s15, s12, 0xffff
	s_mov_b32 s13, 0
	v_lshl_add_u64 v[4:5], s[6:7], 0, v[2:3]
	s_lshl_b32 s12, s15, 2
	s_mov_b64 s[6:7], 0
	v_mov_b32_e32 v1, v0
.LBB20_2:                               ; =>This Inner Loop Header: Depth=1
	v_add_u32_e32 v6, s14, v1
	v_ashrrev_i32_e32 v7, 31, v6
	v_lshlrev_b64 v[6:7], 2, v[6:7]
	v_lshl_add_u64 v[8:9], s[10:11], 0, v[6:7]
	v_lshl_add_u64 v[6:7], s[4:5], 0, v[6:7]
	global_load_dword v2, v[6:7], off
	global_load_dword v10, v[8:9], off
	global_load_dword v11, v[4:5], off
	v_add_u32_e32 v1, s15, v1
	v_cmp_le_i32_e32 vcc, s20, v1
	v_lshl_add_u64 v[4:5], v[4:5], 0, s[12:13]
	s_or_b64 s[6:7], vcc, s[6:7]
	s_waitcnt vmcnt(1)
	v_lshlrev_b32_e32 v12, 16, v10
	s_waitcnt vmcnt(0)
	v_and_b32_e32 v6, 0xffff0000, v11
	v_lshlrev_b32_e32 v7, 16, v11
	v_lshlrev_b32_e32 v11, 16, v2
	v_and_b32_e32 v2, 0xffff0000, v2
	v_and_b32_e32 v10, 0xffff0000, v10
	v_add_f32_e32 v11, v12, v11
	v_add_f32_e32 v2, v10, v2
	v_cvt_pk_bf16_f32 v10, v11, s0
	v_cvt_pk_bf16_f32 v2, v2, s0
	v_lshlrev_b32_e32 v2, 16, v2
	v_lshlrev_b32_e32 v10, 16, v10
	v_add_f32_e32 v2, v2, v6
	v_add_f32_e32 v6, v10, v7
	v_cvt_pk_bf16_f32 v7, v6, v2
	v_cvt_pk_bf16_f32 v6, v6, s0
	;; [unrolled: 1-line block ×3, first 2 shown]
	v_lshlrev_b32_e32 v6, 16, v6
	v_lshlrev_b32_e32 v2, 16, v2
	v_add_f32_e32 v3, v3, v6
	v_add_f32_e32 v3, v3, v2
	global_store_dword v[8:9], v7, off
	s_andn2_b64 exec, exec, s[6:7]
	s_cbranch_execnz .LBB20_2
; %bb.3:
	s_or_b64 exec, exec, s[6:7]
.LBB20_4:
	s_or_b64 exec, exec, s[2:3]
	v_mbcnt_lo_u32_b32 v1, -1, 0
	v_mbcnt_hi_u32_b32 v2, -1, v1
	v_and_b32_e32 v1, 64, v2
	v_add_u32_e32 v8, 64, v1
	v_xor_b32_e32 v1, 32, v2
	v_cmp_lt_i32_e32 vcc, v1, v8
	v_xor_b32_e32 v5, 16, v2
	v_xor_b32_e32 v6, 8, v2
	v_cndmask_b32_e32 v1, v2, v1, vcc
	v_lshlrev_b32_e32 v1, 2, v1
	ds_bpermute_b32 v4, v1, v3
	v_cmp_lt_i32_e32 vcc, v5, v8
	v_xor_b32_e32 v7, 4, v2
	v_xor_b32_e32 v9, 2, v2
	;; [unrolled: 1-line block ×3, first 2 shown]
	s_waitcnt lgkmcnt(0)
	v_add_f32_e32 v3, v3, v4
	v_cndmask_b32_e32 v4, v2, v5, vcc
	v_lshlrev_b32_e32 v4, 2, v4
	ds_bpermute_b32 v5, v4, v3
	v_cmp_lt_i32_e32 vcc, v6, v8
	s_load_dwordx4 s[12:15], s[0:1], 0x18
	s_waitcnt lgkmcnt(0)
	v_add_f32_e32 v3, v3, v5
	v_cndmask_b32_e32 v5, v2, v6, vcc
	v_lshlrev_b32_e32 v5, 2, v5
	ds_bpermute_b32 v6, v5, v3
	v_cmp_lt_i32_e32 vcc, v7, v8
	s_waitcnt lgkmcnt(0)
	v_add_f32_e32 v3, v3, v6
	v_cndmask_b32_e32 v6, v2, v7, vcc
	v_lshlrev_b32_e32 v6, 2, v6
	ds_bpermute_b32 v7, v6, v3
	v_cmp_lt_i32_e32 vcc, v9, v8
	;; [unrolled: 6-line block ×3, first 2 shown]
	s_waitcnt lgkmcnt(0)
	v_add_f32_e32 v3, v3, v9
	v_cndmask_b32_e32 v2, v2, v10, vcc
	v_lshlrev_b32_e32 v8, 2, v2
	ds_bpermute_b32 v9, v8, v3
	v_and_b32_e32 v2, 63, v0
	v_cmp_eq_u32_e64 s[4:5], 0, v2
	v_lshrrev_b32_e32 v10, 4, v0
	s_and_saveexec_b64 s[2:3], s[4:5]
	s_cbranch_execz .LBB20_6
; %bb.5:
	s_waitcnt lgkmcnt(0)
	v_add_f32_e32 v3, v3, v9
	ds_write_b32 v10, v3
.LBB20_6:
	s_or_b64 exec, exec, s[2:3]
	s_waitcnt lgkmcnt(0)
	s_barrier
	s_load_dword s18, s[0:1], 0x3c
	v_mov_b32_e32 v3, 0
	v_lshlrev_b32_e32 v11, 2, v2
	s_waitcnt lgkmcnt(0)
	s_bfe_u32 s0, s18, 0xa0006
	v_cmp_gt_u32_e64 s[0:1], s0, v0
	s_and_saveexec_b64 s[2:3], s[0:1]
; %bb.7:
	ds_read_b32 v3, v11
; %bb.8:
	s_or_b64 exec, exec, s[2:3]
	s_waitcnt lgkmcnt(0)
	ds_bpermute_b32 v2, v1, v3
	v_cvt_f32_i32_e32 v9, s17
	v_cmp_eq_u32_e64 s[6:7], 0, v0
	s_waitcnt lgkmcnt(0)
	v_add_f32_e32 v2, v3, v2
	ds_bpermute_b32 v3, v4, v2
	s_waitcnt lgkmcnt(0)
	v_add_f32_e32 v2, v2, v3
	ds_bpermute_b32 v3, v5, v2
	;; [unrolled: 3-line block ×5, first 2 shown]
	s_and_saveexec_b64 s[2:3], s[6:7]
	s_cbranch_execz .LBB20_10
; %bb.9:
	s_waitcnt lgkmcnt(0)
	v_add_f32_e32 v2, v2, v3
	v_div_scale_f32 v3, s[22:23], v9, v9, v2
	v_rcp_f32_e32 v12, v3
	v_div_scale_f32 v13, vcc, v2, v9, v2
	v_fma_f32 v14, -v3, v12, 1.0
	v_fmac_f32_e32 v12, v14, v12
	v_mul_f32_e32 v14, v13, v12
	v_fma_f32 v15, -v3, v14, v13
	v_fmac_f32_e32 v14, v15, v12
	v_fma_f32 v3, -v3, v14, v13
	v_div_fmas_f32 v3, v3, v12, v14
	v_div_fixup_f32 v2, v3, v9, v2
	v_mov_b32_e32 v3, 0
	ds_write_b32 v3, v2 offset:68
.LBB20_10:
	s_or_b64 exec, exec, s[2:3]
	s_and_b32 s17, 0xffff, s18
	v_mov_b32_e32 v12, 0
	s_waitcnt lgkmcnt(0)
	s_barrier
	s_and_saveexec_b64 s[2:3], s[8:9]
	s_cbranch_execz .LBB20_14
; %bb.11:
	v_mov_b32_e32 v12, 0
	ds_read_b32 v2, v12 offset:68
	s_lshr_b32 s22, s21, 1
	s_mov_b64 s[18:19], 0
	v_mov_b32_e32 v13, v0
	s_waitcnt lgkmcnt(0)
	v_mov_b32_e32 v3, v2
.LBB20_12:                              ; =>This Inner Loop Header: Depth=1
	v_add_u32_e32 v14, s22, v13
	v_ashrrev_i32_e32 v15, 31, v14
	v_lshl_add_u64 v[14:15], v[14:15], 2, s[10:11]
	global_load_dword v14, v[14:15], off
	v_add_u32_e32 v13, s17, v13
	v_cmp_le_i32_e32 vcc, s20, v13
	s_or_b64 s[18:19], vcc, s[18:19]
	s_waitcnt vmcnt(0)
	v_and_b32_e32 v15, 0xffff0000, v14
	v_lshlrev_b32_e32 v14, 16, v14
	v_pk_add_f32 v[14:15], v[14:15], v[2:3] neg_lo:[0,1] neg_hi:[0,1]
	s_nop 0
	v_pk_mul_f32 v[14:15], v[14:15], v[14:15]
	s_nop 0
	v_add_f32_e32 v12, v12, v14
	v_add_f32_e32 v12, v15, v12
	s_andn2_b64 exec, exec, s[18:19]
	s_cbranch_execnz .LBB20_12
; %bb.13:
	s_or_b64 exec, exec, s[18:19]
.LBB20_14:
	s_or_b64 exec, exec, s[2:3]
	ds_bpermute_b32 v2, v1, v12
	s_waitcnt lgkmcnt(0)
	v_add_f32_e32 v2, v12, v2
	ds_bpermute_b32 v3, v4, v2
	s_waitcnt lgkmcnt(0)
	v_add_f32_e32 v2, v2, v3
	;; [unrolled: 3-line block ×5, first 2 shown]
	ds_bpermute_b32 v3, v8, v2
	s_and_saveexec_b64 s[2:3], s[4:5]
	s_cbranch_execz .LBB20_16
; %bb.15:
	s_waitcnt lgkmcnt(0)
	v_add_f32_e32 v2, v2, v3
	ds_write_b32 v10, v2
.LBB20_16:
	s_or_b64 exec, exec, s[2:3]
	v_mov_b32_e32 v2, 0
	s_waitcnt lgkmcnt(0)
	s_barrier
	s_and_saveexec_b64 s[2:3], s[0:1]
; %bb.17:
	ds_read_b32 v2, v11
; %bb.18:
	s_or_b64 exec, exec, s[2:3]
	s_waitcnt lgkmcnt(0)
	ds_bpermute_b32 v1, v1, v2
	s_waitcnt lgkmcnt(0)
	v_add_f32_e32 v1, v2, v1
	ds_bpermute_b32 v2, v4, v1
	s_waitcnt lgkmcnt(0)
	v_add_f32_e32 v1, v1, v2
	;; [unrolled: 3-line block ×5, first 2 shown]
	ds_bpermute_b32 v2, v8, v1
	s_and_saveexec_b64 s[0:1], s[6:7]
	s_cbranch_execz .LBB20_20
; %bb.19:
	s_waitcnt lgkmcnt(0)
	v_add_f32_e32 v1, v1, v2
	v_div_scale_f32 v2, s[2:3], v9, v9, v1
	v_rcp_f32_e32 v3, v2
	v_div_scale_f32 v4, vcc, v1, v9, v1
	s_mov_b32 s2, 0x800000
	v_fma_f32 v5, -v2, v3, 1.0
	v_fmac_f32_e32 v3, v5, v3
	v_mul_f32_e32 v5, v4, v3
	v_fma_f32 v6, -v2, v5, v4
	v_fmac_f32_e32 v5, v6, v3
	v_fma_f32 v2, -v2, v5, v4
	v_div_fmas_f32 v2, v2, v3, v5
	v_div_fixup_f32 v1, v2, v9, v1
	v_add_f32_e32 v1, s16, v1
	v_mul_f32_e32 v2, 0x4b800000, v1
	v_cmp_gt_f32_e32 vcc, s2, v1
	s_nop 1
	v_cndmask_b32_e32 v1, v1, v2, vcc
	v_rsq_f32_e32 v1, v1
	s_nop 0
	v_mul_f32_e32 v2, 0x45800000, v1
	v_cndmask_b32_e32 v1, v1, v2, vcc
	v_mov_b32_e32 v2, 0
	ds_write_b32 v2, v1 offset:64
.LBB20_20:
	s_or_b64 exec, exec, s[0:1]
	s_waitcnt lgkmcnt(0)
	s_barrier
	s_and_saveexec_b64 s[0:1], s[8:9]
	s_cbranch_execz .LBB20_30
; %bb.21:
	v_mov_b32_e32 v1, 0
	ds_read_b64 v[2:3], v1 offset:64
	v_add_u32_e32 v1, 1, v0
	v_max_i32_e32 v4, s20, v1
	v_sub_u32_e32 v12, v4, v0
	s_lshr_b32 s8, s21, 1
	v_cmp_gt_u32_e64 s[2:3], 10, v12
	v_cmp_lt_u32_e32 vcc, 9, v12
	s_and_saveexec_b64 s[4:5], vcc
	s_cbranch_execz .LBB20_27
; %bb.22:
	v_cvt_f32_u32_e32 v4, s17
	v_add_u32_e32 v5, s17, v0
	v_mov_b32_e32 v6, s17
	v_cmp_gt_i32_e32 vcc, s20, v5
	v_rcp_iflag_f32_e32 v4, v4
	s_cmp_eq_u32 s17, 1
	v_max_i32_e32 v7, s20, v5
	v_addc_co_u32_e64 v5, s[0:1], v0, v6, vcc
	v_mul_f32_e32 v4, 0x4f7ffffe, v4
	v_cvt_u32_f32_e32 v4, v4
	s_cselect_b64 s[6:7], -1, 0
	s_sub_i32 s0, 0, s17
	v_sub_u32_e32 v5, v7, v5
	v_mul_lo_u32 v6, s0, v4
	v_mul_hi_u32 v6, v4, v6
	v_add_u32_e32 v4, v4, v6
	v_mul_hi_u32 v4, v5, v4
	v_mul_lo_u32 v6, v4, s17
	v_sub_u32_e32 v5, v5, v6
	v_add_u32_e32 v6, 1, v4
	v_cmp_le_u32_e64 s[0:1], s17, v5
	s_nop 1
	v_cndmask_b32_e64 v4, v4, v6, s[0:1]
	v_subrev_u32_e32 v6, s17, v5
	v_cndmask_b32_e64 v5, v5, v6, s[0:1]
	v_add_u32_e32 v6, 1, v4
	v_cmp_le_u32_e64 s[0:1], s17, v5
	v_add_u32_e32 v5, s8, v0
	s_nop 0
	v_cndmask_b32_e64 v4, v4, v6, s[0:1]
	v_addc_co_u32_e32 v4, vcc, v5, v4, vcc
	v_cmp_ge_i32_e32 vcc, v4, v5
	s_and_b64 s[18:19], s[6:7], vcc
	s_mov_b64 s[6:7], -1
	s_and_saveexec_b64 s[0:1], s[18:19]
	s_cbranch_execz .LBB20_26
; %bb.23:
	v_and_b32_e32 v13, -2, v12
	s_mov_b32 s9, s8
	s_waitcnt lgkmcnt(0)
	v_mov_b32_e32 v4, v3
	v_mov_b32_e32 v5, v3
	;; [unrolled: 1-line block ×4, first 2 shown]
	s_mov_b64 s[6:7], 0
	v_mov_b32_e32 v9, 0
	s_mov_b32 s16, 0x5040100
	s_mov_b32 s18, 0x7060302
	v_mov_b32_e32 v14, v13
	v_mov_b64_e32 v[10:11], v[0:1]
.LBB20_24:                              ; =>This Inner Loop Header: Depth=1
	v_add_u32_e32 v18, s9, v11
	v_add_u32_e32 v16, s8, v10
	v_mov_b32_e32 v8, v10
	v_ashrrev_i32_e32 v19, 31, v18
	v_ashrrev_i32_e32 v17, 31, v16
	v_lshlrev_b64 v[20:21], 2, v[8:9]
	v_mov_b32_e32 v8, v11
	v_lshl_add_u64 v[18:19], v[18:19], 2, s[10:11]
	v_lshl_add_u64 v[16:17], v[16:17], 2, s[10:11]
	v_lshlrev_b64 v[24:25], 2, v[8:9]
	global_load_dword v1, v[18:19], off
	global_load_dword v8, v[16:17], off
	v_lshl_add_u64 v[26:27], s[12:13], 0, v[24:25]
	v_lshl_add_u64 v[22:23], s[12:13], 0, v[20:21]
	;; [unrolled: 1-line block ×4, first 2 shown]
	global_load_dword v15, v[26:27], off
	global_load_dword v28, v[22:23], off
	;; [unrolled: 1-line block ×4, first 2 shown]
	v_add_u32_e32 v14, -2, v14
	v_cmp_eq_u32_e32 vcc, 0, v14
	v_add_u32_e32 v10, 2, v10
	v_add_u32_e32 v11, 2, v11
	s_or_b64 s[6:7], vcc, s[6:7]
	s_waitcnt vmcnt(5)
	v_lshlrev_b32_e32 v21, 16, v1
	s_waitcnt vmcnt(4)
	v_lshlrev_b32_e32 v20, 16, v8
	v_and_b32_e32 v23, 0xffff0000, v1
	v_and_b32_e32 v22, 0xffff0000, v8
	v_pk_add_f32 v[20:21], v[20:21], v[4:5] neg_lo:[0,1] neg_hi:[0,1]
	v_pk_add_f32 v[22:23], v[22:23], v[4:5] neg_lo:[0,1] neg_hi:[0,1]
	s_waitcnt vmcnt(3)
	v_lshlrev_b32_e32 v25, 16, v15
	s_waitcnt vmcnt(2)
	v_lshlrev_b32_e32 v24, 16, v28
	v_and_b32_e32 v27, 0xffff0000, v15
	v_and_b32_e32 v26, 0xffff0000, v28
	s_waitcnt vmcnt(1)
	v_lshlrev_b32_e32 v29, 16, v30
	s_waitcnt vmcnt(0)
	v_lshlrev_b32_e32 v28, 16, v32
	v_and_b32_e32 v31, 0xffff0000, v30
	v_and_b32_e32 v30, 0xffff0000, v32
	v_pk_mul_f32 v[20:21], v[20:21], v[6:7]
	v_pk_mul_f32 v[22:23], v[22:23], v[6:7]
	v_pk_fma_f32 v[20:21], v[20:21], v[24:25], v[28:29]
	v_pk_fma_f32 v[22:23], v[22:23], v[26:27], v[30:31]
	v_cvt_pk_bf16_f32 v1, v20, v21
	v_cvt_pk_bf16_f32 v8, v22, v23
	v_perm_b32 v15, v8, v1, s16
	v_perm_b32 v1, v8, v1, s18
	global_store_dword v[16:17], v15, off
	global_store_dword v[18:19], v1, off
	s_andn2_b64 exec, exec, s[6:7]
	s_cbranch_execnz .LBB20_24
; %bb.25:
	s_or_b64 exec, exec, s[6:7]
	v_cmp_ne_u32_e32 vcc, v12, v13
	v_add_u32_e32 v0, v0, v13
	s_orn2_b64 s[6:7], vcc, exec
.LBB20_26:
	s_or_b64 exec, exec, s[0:1]
	s_andn2_b64 s[0:1], s[2:3], exec
	s_and_b64 s[2:3], s[6:7], exec
	s_or_b64 s[2:3], s[0:1], s[2:3]
.LBB20_27:
	s_or_b64 exec, exec, s[4:5]
	s_and_b64 exec, exec, s[2:3]
	s_cbranch_execz .LBB20_30
; %bb.28:
	v_mov_b32_e32 v1, 0
	s_waitcnt lgkmcnt(0)
	v_mov_b32_e32 v4, v3
	v_mov_b32_e32 v5, v3
	;; [unrolled: 1-line block ×3, first 2 shown]
	s_mov_b32 s1, 0
	v_lshlrev_b64 v[6:7], 2, v[0:1]
	s_lshl_b32 s0, s17, 2
	s_mov_b64 s[2:3], 0
.LBB20_29:                              ; =>This Inner Loop Header: Depth=1
	v_add_u32_e32 v8, s8, v0
	v_ashrrev_i32_e32 v9, 31, v8
	v_lshl_add_u64 v[10:11], s[12:13], 0, v[6:7]
	v_lshl_add_u64 v[8:9], v[8:9], 2, s[10:11]
	;; [unrolled: 1-line block ×3, first 2 shown]
	global_load_dword v1, v[10:11], off
	global_load_dword v14, v[8:9], off
	;; [unrolled: 1-line block ×3, first 2 shown]
	v_add_u32_e32 v0, s17, v0
	v_cmp_le_i32_e32 vcc, s20, v0
	v_lshl_add_u64 v[6:7], v[6:7], 0, s[0:1]
	s_or_b64 s[2:3], vcc, s[2:3]
	s_waitcnt vmcnt(2)
	v_and_b32_e32 v11, 0xffff0000, v1
	s_waitcnt vmcnt(0)
	v_and_b32_e32 v13, 0xffff0000, v15
	v_lshlrev_b32_e32 v12, 16, v15
	v_and_b32_e32 v15, 0xffff0000, v14
	v_lshlrev_b32_e32 v14, 16, v14
	v_pk_add_f32 v[14:15], v[14:15], v[4:5] neg_lo:[0,1] neg_hi:[0,1]
	v_lshlrev_b32_e32 v10, 16, v1
	v_pk_mul_f32 v[14:15], v[14:15], v[2:3]
	s_nop 0
	v_pk_fma_f32 v[10:11], v[14:15], v[10:11], v[12:13]
	s_nop 0
	v_cvt_pk_bf16_f32 v1, v10, v11
	global_store_dword v[8:9], v1, off
	s_andn2_b64 exec, exec, s[2:3]
	s_cbranch_execnz .LBB20_29
.LBB20_30:
	s_endpgm
	.section	.rodata,"a",@progbits
	.p2align	6, 0x0
	.amdhsa_kernel _Z35generalAddBiasResidualPostLayerNormI14__hip_bfloat16Li64EEvPT_PKS1_S4_S4_S4_fi
		.amdhsa_group_segment_fixed_size 72
		.amdhsa_private_segment_fixed_size 0
		.amdhsa_kernarg_size 304
		.amdhsa_user_sgpr_count 2
		.amdhsa_user_sgpr_dispatch_ptr 0
		.amdhsa_user_sgpr_queue_ptr 0
		.amdhsa_user_sgpr_kernarg_segment_ptr 1
		.amdhsa_user_sgpr_dispatch_id 0
		.amdhsa_user_sgpr_kernarg_preload_length 0
		.amdhsa_user_sgpr_kernarg_preload_offset 0
		.amdhsa_user_sgpr_private_segment_size 0
		.amdhsa_uses_dynamic_stack 0
		.amdhsa_enable_private_segment 0
		.amdhsa_system_sgpr_workgroup_id_x 1
		.amdhsa_system_sgpr_workgroup_id_y 0
		.amdhsa_system_sgpr_workgroup_id_z 0
		.amdhsa_system_sgpr_workgroup_info 0
		.amdhsa_system_vgpr_workitem_id 0
		.amdhsa_next_free_vgpr 33
		.amdhsa_next_free_sgpr 24
		.amdhsa_accum_offset 36
		.amdhsa_reserve_vcc 1
		.amdhsa_float_round_mode_32 0
		.amdhsa_float_round_mode_16_64 0
		.amdhsa_float_denorm_mode_32 3
		.amdhsa_float_denorm_mode_16_64 3
		.amdhsa_dx10_clamp 1
		.amdhsa_ieee_mode 1
		.amdhsa_fp16_overflow 0
		.amdhsa_tg_split 0
		.amdhsa_exception_fp_ieee_invalid_op 0
		.amdhsa_exception_fp_denorm_src 0
		.amdhsa_exception_fp_ieee_div_zero 0
		.amdhsa_exception_fp_ieee_overflow 0
		.amdhsa_exception_fp_ieee_underflow 0
		.amdhsa_exception_fp_ieee_inexact 0
		.amdhsa_exception_int_div_zero 0
	.end_amdhsa_kernel
	.section	.text._Z35generalAddBiasResidualPostLayerNormI14__hip_bfloat16Li64EEvPT_PKS1_S4_S4_S4_fi,"axG",@progbits,_Z35generalAddBiasResidualPostLayerNormI14__hip_bfloat16Li64EEvPT_PKS1_S4_S4_S4_fi,comdat
.Lfunc_end20:
	.size	_Z35generalAddBiasResidualPostLayerNormI14__hip_bfloat16Li64EEvPT_PKS1_S4_S4_S4_fi, .Lfunc_end20-_Z35generalAddBiasResidualPostLayerNormI14__hip_bfloat16Li64EEvPT_PKS1_S4_S4_S4_fi
                                        ; -- End function
	.set _Z35generalAddBiasResidualPostLayerNormI14__hip_bfloat16Li64EEvPT_PKS1_S4_S4_S4_fi.num_vgpr, 33
	.set _Z35generalAddBiasResidualPostLayerNormI14__hip_bfloat16Li64EEvPT_PKS1_S4_S4_S4_fi.num_agpr, 0
	.set _Z35generalAddBiasResidualPostLayerNormI14__hip_bfloat16Li64EEvPT_PKS1_S4_S4_S4_fi.numbered_sgpr, 24
	.set _Z35generalAddBiasResidualPostLayerNormI14__hip_bfloat16Li64EEvPT_PKS1_S4_S4_S4_fi.num_named_barrier, 0
	.set _Z35generalAddBiasResidualPostLayerNormI14__hip_bfloat16Li64EEvPT_PKS1_S4_S4_S4_fi.private_seg_size, 0
	.set _Z35generalAddBiasResidualPostLayerNormI14__hip_bfloat16Li64EEvPT_PKS1_S4_S4_S4_fi.uses_vcc, 1
	.set _Z35generalAddBiasResidualPostLayerNormI14__hip_bfloat16Li64EEvPT_PKS1_S4_S4_S4_fi.uses_flat_scratch, 0
	.set _Z35generalAddBiasResidualPostLayerNormI14__hip_bfloat16Li64EEvPT_PKS1_S4_S4_S4_fi.has_dyn_sized_stack, 0
	.set _Z35generalAddBiasResidualPostLayerNormI14__hip_bfloat16Li64EEvPT_PKS1_S4_S4_S4_fi.has_recursion, 0
	.set _Z35generalAddBiasResidualPostLayerNormI14__hip_bfloat16Li64EEvPT_PKS1_S4_S4_S4_fi.has_indirect_call, 0
	.section	.AMDGPU.csdata,"",@progbits
; Kernel info:
; codeLenInByte = 2356
; TotalNumSgprs: 30
; NumVgprs: 33
; NumAgprs: 0
; TotalNumVgprs: 33
; ScratchSize: 0
; MemoryBound: 0
; FloatMode: 240
; IeeeMode: 1
; LDSByteSize: 72 bytes/workgroup (compile time only)
; SGPRBlocks: 3
; VGPRBlocks: 4
; NumSGPRsForWavesPerEU: 30
; NumVGPRsForWavesPerEU: 33
; AccumOffset: 36
; Occupancy: 8
; WaveLimiterHint : 0
; COMPUTE_PGM_RSRC2:SCRATCH_EN: 0
; COMPUTE_PGM_RSRC2:USER_SGPR: 2
; COMPUTE_PGM_RSRC2:TRAP_HANDLER: 0
; COMPUTE_PGM_RSRC2:TGID_X_EN: 1
; COMPUTE_PGM_RSRC2:TGID_Y_EN: 0
; COMPUTE_PGM_RSRC2:TGID_Z_EN: 0
; COMPUTE_PGM_RSRC2:TIDIG_COMP_CNT: 0
; COMPUTE_PGM_RSRC3_GFX90A:ACCUM_OFFSET: 8
; COMPUTE_PGM_RSRC3_GFX90A:TG_SPLIT: 0
	.section	.text._Z28addBiasResidualPostLayerNormI14__hip_bfloat16Li1ELi32EEvPT_PKS1_S4_S4_S4_fi,"axG",@progbits,_Z28addBiasResidualPostLayerNormI14__hip_bfloat16Li1ELi32EEvPT_PKS1_S4_S4_S4_fi,comdat
	.protected	_Z28addBiasResidualPostLayerNormI14__hip_bfloat16Li1ELi32EEvPT_PKS1_S4_S4_S4_fi ; -- Begin function _Z28addBiasResidualPostLayerNormI14__hip_bfloat16Li1ELi32EEvPT_PKS1_S4_S4_S4_fi
	.globl	_Z28addBiasResidualPostLayerNormI14__hip_bfloat16Li1ELi32EEvPT_PKS1_S4_S4_S4_fi
	.p2align	8
	.type	_Z28addBiasResidualPostLayerNormI14__hip_bfloat16Li1ELi32EEvPT_PKS1_S4_S4_S4_fi,@function
_Z28addBiasResidualPostLayerNormI14__hip_bfloat16Li1ELi32EEvPT_PKS1_S4_S4_S4_fi: ; @_Z28addBiasResidualPostLayerNormI14__hip_bfloat16Li1ELi32EEvPT_PKS1_S4_S4_S4_fi
; %bb.0:
	s_load_dwordx2 s[14:15], s[0:1], 0x28
	s_load_dwordx2 s[12:13], s[0:1], 0x0
	v_mov_b32_e32 v5, 0
	v_lshlrev_b32_e32 v1, 1, v0
                                        ; implicit-def: $vgpr4
	s_waitcnt lgkmcnt(0)
	s_mul_i32 s2, s15, s2
	v_cmp_gt_i32_e64 s[10:11], s15, v0
	v_add_u32_e32 v2, s2, v0
	s_and_saveexec_b64 s[2:3], s[10:11]
	s_cbranch_execz .LBB21_2
; %bb.1:
	s_load_dwordx4 s[4:7], s[0:1], 0x8
	v_mov_b32_e32 v3, 0
	v_lshlrev_b64 v[4:5], 1, v[2:3]
	v_lshl_add_u64 v[6:7], s[12:13], 0, v[4:5]
	global_load_ushort v3, v[6:7], off
	s_waitcnt lgkmcnt(0)
	v_lshl_add_u64 v[4:5], s[4:5], 0, v[4:5]
	global_load_ushort v6, v[4:5], off
	global_load_ushort v7, v1, s[6:7]
	s_waitcnt vmcnt(2)
	v_lshlrev_b32_e32 v3, 16, v3
	s_waitcnt vmcnt(1)
	v_lshlrev_b32_e32 v4, 16, v6
	v_add_f32_e32 v3, v3, v4
	v_cvt_pk_bf16_f32 v3, v3, s0
	v_lshlrev_b32_e32 v3, 16, v3
	s_waitcnt vmcnt(0)
	v_lshlrev_b32_e32 v4, 16, v7
	v_add_f32_e32 v3, v3, v4
	v_cvt_pk_bf16_f32 v3, v3, s0
	v_lshlrev_b32_e32 v4, 16, v3
	v_add_f32_e32 v5, 0, v4
.LBB21_2:
	s_or_b64 exec, exec, s[2:3]
	v_mbcnt_lo_u32_b32 v3, -1, 0
	v_mbcnt_hi_u32_b32 v8, -1, v3
	v_and_b32_e32 v3, 0x60, v8
	v_add_u32_e32 v9, 32, v3
	v_xor_b32_e32 v3, 16, v8
	v_cmp_lt_i32_e32 vcc, v3, v9
	v_xor_b32_e32 v7, 8, v8
	v_xor_b32_e32 v10, 4, v8
	v_cndmask_b32_e32 v3, v8, v3, vcc
	v_lshlrev_b32_e32 v3, 2, v3
	ds_bpermute_b32 v6, v3, v5
	v_cmp_lt_i32_e32 vcc, v7, v9
	v_xor_b32_e32 v11, 2, v8
	v_xor_b32_e32 v12, 1, v8
	s_waitcnt lgkmcnt(0)
	v_add_f32_e32 v6, v5, v6
	v_cndmask_b32_e32 v5, v8, v7, vcc
	v_lshlrev_b32_e32 v5, 2, v5
	ds_bpermute_b32 v7, v5, v6
	v_cmp_lt_i32_e32 vcc, v10, v9
	s_waitcnt lgkmcnt(0)
	v_add_f32_e32 v7, v6, v7
	v_cndmask_b32_e32 v6, v8, v10, vcc
	v_lshlrev_b32_e32 v6, 2, v6
	ds_bpermute_b32 v10, v6, v7
	v_cmp_lt_i32_e32 vcc, v11, v9
	s_waitcnt lgkmcnt(0)
	v_add_f32_e32 v10, v7, v10
	v_cndmask_b32_e32 v7, v8, v11, vcc
	v_lshlrev_b32_e32 v7, 2, v7
	ds_bpermute_b32 v11, v7, v10
	v_cmp_lt_i32_e32 vcc, v12, v9
	v_and_b32_e32 v9, 31, v0
	v_cmp_eq_u32_e64 s[4:5], 0, v9
	v_cndmask_b32_e32 v8, v8, v12, vcc
	s_waitcnt lgkmcnt(0)
	v_add_f32_e32 v11, v10, v11
	v_lshlrev_b32_e32 v8, 2, v8
	ds_bpermute_b32 v12, v8, v11
	v_lshrrev_b32_e32 v10, 3, v0
	s_and_saveexec_b64 s[2:3], s[4:5]
	s_cbranch_execz .LBB21_4
; %bb.3:
	s_waitcnt lgkmcnt(0)
	v_add_f32_e32 v11, v11, v12
	ds_write_b32 v10, v11
.LBB21_4:
	s_or_b64 exec, exec, s[2:3]
	s_waitcnt lgkmcnt(0)
	s_barrier
	s_load_dword s2, s[0:1], 0x3c
	v_mov_b32_e32 v12, 0
	v_lshlrev_b32_e32 v11, 2, v9
	s_waitcnt lgkmcnt(0)
	s_bfe_u32 s2, s2, 0xb0005
	v_cmp_gt_u32_e64 s[6:7], s2, v0
	s_and_saveexec_b64 s[2:3], s[6:7]
; %bb.5:
	ds_read_b32 v12, v11
; %bb.6:
	s_or_b64 exec, exec, s[2:3]
	s_waitcnt lgkmcnt(0)
	ds_bpermute_b32 v9, v3, v12
	v_cmp_eq_u32_e64 s[8:9], 0, v0
	s_waitcnt lgkmcnt(0)
	v_add_f32_e32 v9, v12, v9
	ds_bpermute_b32 v12, v5, v9
	s_waitcnt lgkmcnt(0)
	v_add_f32_e32 v9, v9, v12
	ds_bpermute_b32 v12, v6, v9
	;; [unrolled: 3-line block ×4, first 2 shown]
	v_cvt_f32_i32_e32 v9, s15
	s_and_saveexec_b64 s[2:3], s[8:9]
	s_cbranch_execz .LBB21_8
; %bb.7:
	s_waitcnt lgkmcnt(0)
	v_add_f32_e32 v0, v12, v13
	v_div_scale_f32 v12, s[16:17], v9, v9, v0
	v_rcp_f32_e32 v13, v12
	v_div_scale_f32 v14, vcc, v0, v9, v0
	v_fma_f32 v15, -v12, v13, 1.0
	v_fmac_f32_e32 v13, v15, v13
	v_mul_f32_e32 v15, v14, v13
	v_fma_f32 v16, -v12, v15, v14
	v_fmac_f32_e32 v15, v16, v13
	v_fma_f32 v12, -v12, v15, v14
	v_div_fmas_f32 v12, v12, v13, v15
	v_div_fixup_f32 v0, v12, v9, v0
	v_mov_b32_e32 v12, 0
	ds_write_b32 v12, v0 offset:132
.LBB21_8:
	s_or_b64 exec, exec, s[2:3]
	v_mov_b32_e32 v0, 0
	s_waitcnt lgkmcnt(0)
	s_barrier
	ds_read_b32 v12, v0 offset:132
	s_waitcnt lgkmcnt(0)
	v_sub_f32_e32 v12, v4, v12
	v_mul_f32_e32 v12, v12, v12
	v_cndmask_b32_e64 v12, 0, v12, s[10:11]
	ds_bpermute_b32 v13, v3, v12
	s_waitcnt lgkmcnt(0)
	v_add_f32_e32 v12, v12, v13
	ds_bpermute_b32 v13, v5, v12
	s_waitcnt lgkmcnt(0)
	v_add_f32_e32 v12, v12, v13
	;; [unrolled: 3-line block ×4, first 2 shown]
	ds_bpermute_b32 v13, v8, v12
	s_and_saveexec_b64 s[2:3], s[4:5]
	s_cbranch_execz .LBB21_10
; %bb.9:
	s_waitcnt lgkmcnt(0)
	v_add_f32_e32 v12, v12, v13
	ds_write_b32 v10, v12
.LBB21_10:
	s_or_b64 exec, exec, s[2:3]
	s_waitcnt lgkmcnt(0)
	s_barrier
	s_and_saveexec_b64 s[2:3], s[6:7]
; %bb.11:
	ds_read_b32 v0, v11
; %bb.12:
	s_or_b64 exec, exec, s[2:3]
	s_waitcnt lgkmcnt(0)
	ds_bpermute_b32 v3, v3, v0
	s_waitcnt lgkmcnt(0)
	v_add_f32_e32 v0, v0, v3
	ds_bpermute_b32 v3, v5, v0
	s_waitcnt lgkmcnt(0)
	v_add_f32_e32 v0, v0, v3
	;; [unrolled: 3-line block ×4, first 2 shown]
	ds_bpermute_b32 v3, v8, v0
	s_and_saveexec_b64 s[2:3], s[8:9]
	s_cbranch_execz .LBB21_14
; %bb.13:
	s_waitcnt lgkmcnt(0)
	v_add_f32_e32 v0, v0, v3
	v_div_scale_f32 v3, s[4:5], v9, v9, v0
	v_rcp_f32_e32 v5, v3
	v_div_scale_f32 v6, vcc, v0, v9, v0
	v_fma_f32 v7, -v3, v5, 1.0
	v_fmac_f32_e32 v5, v7, v5
	v_mul_f32_e32 v7, v6, v5
	v_fma_f32 v8, -v3, v7, v6
	v_fmac_f32_e32 v7, v8, v5
	v_fma_f32 v3, -v3, v7, v6
	v_div_fmas_f32 v3, v3, v5, v7
	v_div_fixup_f32 v0, v3, v9, v0
	v_add_f32_e32 v0, s14, v0
	v_mov_b32_e32 v3, 0
	ds_write_b32 v3, v0 offset:128
.LBB21_14:
	s_or_b64 exec, exec, s[2:3]
	s_waitcnt lgkmcnt(0)
	s_barrier
	s_and_saveexec_b64 s[2:3], s[10:11]
	s_cbranch_execz .LBB21_16
; %bb.15:
	s_load_dwordx4 s[4:7], s[0:1], 0x18
	v_mov_b32_e32 v3, 0
	s_mov_b32 s0, 0x800000
	s_waitcnt lgkmcnt(0)
	global_load_ushort v5, v1, s[4:5]
	global_load_ushort v6, v1, s[6:7]
	ds_read_b64 v[0:1], v3 offset:128
	s_waitcnt lgkmcnt(0)
	v_mul_f32_e32 v7, 0x4b800000, v0
	v_cmp_gt_f32_e32 vcc, s0, v0
	v_sub_f32_e32 v1, v4, v1
	s_nop 0
	v_cndmask_b32_e32 v0, v0, v7, vcc
	v_rsq_f32_e32 v0, v0
	s_nop 0
	v_mul_f32_e32 v4, 0x45800000, v0
	v_cndmask_b32_e32 v0, v0, v4, vcc
	v_mul_f32_e32 v0, v1, v0
	s_waitcnt vmcnt(1)
	v_lshlrev_b32_e32 v1, 16, v5
	s_waitcnt vmcnt(0)
	v_lshlrev_b32_e32 v4, 16, v6
	v_fmac_f32_e32 v4, v0, v1
	v_cvt_pk_bf16_f32 v4, v4, s0
	v_lshl_add_u64 v[0:1], v[2:3], 1, s[12:13]
	global_store_short v[0:1], v4, off
.LBB21_16:
	s_endpgm
	.section	.rodata,"a",@progbits
	.p2align	6, 0x0
	.amdhsa_kernel _Z28addBiasResidualPostLayerNormI14__hip_bfloat16Li1ELi32EEvPT_PKS1_S4_S4_S4_fi
		.amdhsa_group_segment_fixed_size 136
		.amdhsa_private_segment_fixed_size 0
		.amdhsa_kernarg_size 304
		.amdhsa_user_sgpr_count 2
		.amdhsa_user_sgpr_dispatch_ptr 0
		.amdhsa_user_sgpr_queue_ptr 0
		.amdhsa_user_sgpr_kernarg_segment_ptr 1
		.amdhsa_user_sgpr_dispatch_id 0
		.amdhsa_user_sgpr_kernarg_preload_length 0
		.amdhsa_user_sgpr_kernarg_preload_offset 0
		.amdhsa_user_sgpr_private_segment_size 0
		.amdhsa_uses_dynamic_stack 0
		.amdhsa_enable_private_segment 0
		.amdhsa_system_sgpr_workgroup_id_x 1
		.amdhsa_system_sgpr_workgroup_id_y 0
		.amdhsa_system_sgpr_workgroup_id_z 0
		.amdhsa_system_sgpr_workgroup_info 0
		.amdhsa_system_vgpr_workitem_id 0
		.amdhsa_next_free_vgpr 17
		.amdhsa_next_free_sgpr 18
		.amdhsa_accum_offset 20
		.amdhsa_reserve_vcc 1
		.amdhsa_float_round_mode_32 0
		.amdhsa_float_round_mode_16_64 0
		.amdhsa_float_denorm_mode_32 3
		.amdhsa_float_denorm_mode_16_64 3
		.amdhsa_dx10_clamp 1
		.amdhsa_ieee_mode 1
		.amdhsa_fp16_overflow 0
		.amdhsa_tg_split 0
		.amdhsa_exception_fp_ieee_invalid_op 0
		.amdhsa_exception_fp_denorm_src 0
		.amdhsa_exception_fp_ieee_div_zero 0
		.amdhsa_exception_fp_ieee_overflow 0
		.amdhsa_exception_fp_ieee_underflow 0
		.amdhsa_exception_fp_ieee_inexact 0
		.amdhsa_exception_int_div_zero 0
	.end_amdhsa_kernel
	.section	.text._Z28addBiasResidualPostLayerNormI14__hip_bfloat16Li1ELi32EEvPT_PKS1_S4_S4_S4_fi,"axG",@progbits,_Z28addBiasResidualPostLayerNormI14__hip_bfloat16Li1ELi32EEvPT_PKS1_S4_S4_S4_fi,comdat
.Lfunc_end21:
	.size	_Z28addBiasResidualPostLayerNormI14__hip_bfloat16Li1ELi32EEvPT_PKS1_S4_S4_S4_fi, .Lfunc_end21-_Z28addBiasResidualPostLayerNormI14__hip_bfloat16Li1ELi32EEvPT_PKS1_S4_S4_S4_fi
                                        ; -- End function
	.set _Z28addBiasResidualPostLayerNormI14__hip_bfloat16Li1ELi32EEvPT_PKS1_S4_S4_S4_fi.num_vgpr, 17
	.set _Z28addBiasResidualPostLayerNormI14__hip_bfloat16Li1ELi32EEvPT_PKS1_S4_S4_S4_fi.num_agpr, 0
	.set _Z28addBiasResidualPostLayerNormI14__hip_bfloat16Li1ELi32EEvPT_PKS1_S4_S4_S4_fi.numbered_sgpr, 18
	.set _Z28addBiasResidualPostLayerNormI14__hip_bfloat16Li1ELi32EEvPT_PKS1_S4_S4_S4_fi.num_named_barrier, 0
	.set _Z28addBiasResidualPostLayerNormI14__hip_bfloat16Li1ELi32EEvPT_PKS1_S4_S4_S4_fi.private_seg_size, 0
	.set _Z28addBiasResidualPostLayerNormI14__hip_bfloat16Li1ELi32EEvPT_PKS1_S4_S4_S4_fi.uses_vcc, 1
	.set _Z28addBiasResidualPostLayerNormI14__hip_bfloat16Li1ELi32EEvPT_PKS1_S4_S4_S4_fi.uses_flat_scratch, 0
	.set _Z28addBiasResidualPostLayerNormI14__hip_bfloat16Li1ELi32EEvPT_PKS1_S4_S4_S4_fi.has_dyn_sized_stack, 0
	.set _Z28addBiasResidualPostLayerNormI14__hip_bfloat16Li1ELi32EEvPT_PKS1_S4_S4_S4_fi.has_recursion, 0
	.set _Z28addBiasResidualPostLayerNormI14__hip_bfloat16Li1ELi32EEvPT_PKS1_S4_S4_S4_fi.has_indirect_call, 0
	.section	.AMDGPU.csdata,"",@progbits
; Kernel info:
; codeLenInByte = 1168
; TotalNumSgprs: 24
; NumVgprs: 17
; NumAgprs: 0
; TotalNumVgprs: 17
; ScratchSize: 0
; MemoryBound: 0
; FloatMode: 240
; IeeeMode: 1
; LDSByteSize: 136 bytes/workgroup (compile time only)
; SGPRBlocks: 2
; VGPRBlocks: 2
; NumSGPRsForWavesPerEU: 24
; NumVGPRsForWavesPerEU: 17
; AccumOffset: 20
; Occupancy: 8
; WaveLimiterHint : 0
; COMPUTE_PGM_RSRC2:SCRATCH_EN: 0
; COMPUTE_PGM_RSRC2:USER_SGPR: 2
; COMPUTE_PGM_RSRC2:TRAP_HANDLER: 0
; COMPUTE_PGM_RSRC2:TGID_X_EN: 1
; COMPUTE_PGM_RSRC2:TGID_Y_EN: 0
; COMPUTE_PGM_RSRC2:TGID_Z_EN: 0
; COMPUTE_PGM_RSRC2:TIDIG_COMP_CNT: 0
; COMPUTE_PGM_RSRC3_GFX90A:ACCUM_OFFSET: 4
; COMPUTE_PGM_RSRC3_GFX90A:TG_SPLIT: 0
	.section	.text._Z28addBiasResidualPostLayerNormI14__hip_bfloat16Li2ELi32EEvPT_PKS1_S4_S4_S4_fi,"axG",@progbits,_Z28addBiasResidualPostLayerNormI14__hip_bfloat16Li2ELi32EEvPT_PKS1_S4_S4_S4_fi,comdat
	.protected	_Z28addBiasResidualPostLayerNormI14__hip_bfloat16Li2ELi32EEvPT_PKS1_S4_S4_S4_fi ; -- Begin function _Z28addBiasResidualPostLayerNormI14__hip_bfloat16Li2ELi32EEvPT_PKS1_S4_S4_S4_fi
	.globl	_Z28addBiasResidualPostLayerNormI14__hip_bfloat16Li2ELi32EEvPT_PKS1_S4_S4_S4_fi
	.p2align	8
	.type	_Z28addBiasResidualPostLayerNormI14__hip_bfloat16Li2ELi32EEvPT_PKS1_S4_S4_S4_fi,@function
_Z28addBiasResidualPostLayerNormI14__hip_bfloat16Li2ELi32EEvPT_PKS1_S4_S4_S4_fi: ; @_Z28addBiasResidualPostLayerNormI14__hip_bfloat16Li2ELi32EEvPT_PKS1_S4_S4_S4_fi
; %bb.0:
	s_load_dwordx2 s[14:15], s[0:1], 0x28
	s_load_dwordx2 s[12:13], s[0:1], 0x0
	v_mov_b32_e32 v7, 0
	v_lshlrev_b32_e32 v4, 1, v0
	v_mov_b32_e32 v6, 0
	s_waitcnt lgkmcnt(0)
	s_mul_i32 s16, s15, s2
	v_cmp_gt_i32_e64 s[10:11], s15, v0
	v_add_u32_e32 v2, s16, v0
	v_mov_b32_e32 v3, v7
	s_and_saveexec_b64 s[2:3], s[10:11]
	s_cbranch_execz .LBB22_4
; %bb.1:
	s_load_dwordx4 s[4:7], s[0:1], 0x8
	s_load_dword s8, s[0:1], 0x3c
	v_mov_b32_e32 v3, 0
	v_lshlrev_b64 v[6:7], 1, v[2:3]
	v_lshl_add_u64 v[8:9], s[12:13], 0, v[6:7]
	global_load_ushort v5, v[8:9], off
	s_waitcnt lgkmcnt(0)
	v_lshl_add_u64 v[6:7], s[4:5], 0, v[6:7]
	global_load_ushort v8, v4, s[6:7]
	global_load_ushort v9, v[6:7], off
	s_and_b32 s17, s8, 0xffff
	v_add_u32_e32 v1, s17, v0
	v_cmp_gt_u32_e32 vcc, s15, v1
	s_waitcnt vmcnt(2)
	v_lshlrev_b32_e32 v5, 16, v5
	s_waitcnt vmcnt(1)
	v_lshlrev_b32_e32 v6, 16, v8
	s_waitcnt vmcnt(0)
	v_lshlrev_b32_e32 v7, 16, v9
	v_add_f32_e32 v5, v5, v7
	v_cvt_pk_bf16_f32 v5, v5, s0
	v_lshlrev_b32_e32 v5, 16, v5
	v_add_f32_e32 v5, v5, v6
	v_cvt_pk_bf16_f32 v5, v5, s0
	v_lshlrev_b32_e32 v6, 16, v5
	v_add_f32_e32 v7, 0, v6
	s_and_saveexec_b64 s[8:9], vcc
	s_cbranch_execz .LBB22_3
; %bb.2:
	v_add_u32_e32 v10, s16, v1
	v_mov_b32_e32 v11, v3
	v_lshlrev_b64 v[10:11], 1, v[10:11]
	v_lshl_add_u64 v[12:13], s[12:13], 0, v[10:11]
	v_lshl_add_u64 v[10:11], s[4:5], 0, v[10:11]
	v_mov_b32_e32 v5, v3
	global_load_ushort v1, v[10:11], off
	global_load_ushort v3, v[12:13], off
	v_lshl_add_u64 v[8:9], s[6:7], 0, v[4:5]
	s_mov_b32 s5, 0
	s_lshl_b32 s4, s17, 1
	v_lshl_add_u64 v[8:9], v[8:9], 0, s[4:5]
	global_load_ushort v5, v[8:9], off
	s_waitcnt vmcnt(2)
	v_lshlrev_b32_e32 v1, 16, v1
	s_waitcnt vmcnt(1)
	v_lshlrev_b32_e32 v3, 16, v3
	v_add_f32_e32 v1, v3, v1
	v_cvt_pk_bf16_f32 v1, v1, s0
	v_lshlrev_b32_e32 v1, 16, v1
	s_waitcnt vmcnt(0)
	v_lshlrev_b32_e32 v3, 16, v5
	v_add_f32_e32 v1, v1, v3
	v_cvt_pk_bf16_f32 v1, v1, s0
	v_lshlrev_b32_e32 v3, 16, v1
	v_add_f32_e32 v7, v7, v3
.LBB22_3:
	s_or_b64 exec, exec, s[8:9]
.LBB22_4:
	s_or_b64 exec, exec, s[2:3]
	v_mbcnt_lo_u32_b32 v1, -1, 0
	v_mbcnt_hi_u32_b32 v11, -1, v1
	v_and_b32_e32 v1, 0x60, v11
	v_add_u32_e32 v12, 32, v1
	v_xor_b32_e32 v1, 16, v11
	v_cmp_lt_i32_e32 vcc, v1, v12
	v_xor_b32_e32 v8, 8, v11
	v_xor_b32_e32 v9, 4, v11
	v_cndmask_b32_e32 v1, v11, v1, vcc
	v_lshlrev_b32_e32 v1, 2, v1
	ds_bpermute_b32 v5, v1, v7
	v_cmp_lt_i32_e32 vcc, v8, v12
	v_xor_b32_e32 v10, 2, v11
	v_xor_b32_e32 v13, 1, v11
	s_waitcnt lgkmcnt(0)
	v_add_f32_e32 v7, v7, v5
	v_cndmask_b32_e32 v5, v11, v8, vcc
	v_lshlrev_b32_e32 v5, 2, v5
	ds_bpermute_b32 v8, v5, v7
	v_cmp_lt_i32_e32 vcc, v9, v12
	s_waitcnt lgkmcnt(0)
	v_add_f32_e32 v7, v7, v8
	v_cndmask_b32_e32 v8, v11, v9, vcc
	v_lshlrev_b32_e32 v8, 2, v8
	ds_bpermute_b32 v9, v8, v7
	v_cmp_lt_i32_e32 vcc, v10, v12
	;; [unrolled: 6-line block ×3, first 2 shown]
	s_waitcnt lgkmcnt(0)
	v_add_f32_e32 v10, v7, v10
	v_cndmask_b32_e32 v7, v11, v13, vcc
	v_lshlrev_b32_e32 v11, 2, v7
	ds_bpermute_b32 v12, v11, v10
	v_and_b32_e32 v7, 31, v0
	v_cmp_eq_u32_e64 s[4:5], 0, v7
	v_lshrrev_b32_e32 v13, 3, v0
	s_and_saveexec_b64 s[2:3], s[4:5]
	s_cbranch_execz .LBB22_6
; %bb.5:
	s_waitcnt lgkmcnt(0)
	v_add_f32_e32 v10, v10, v12
	ds_write_b32 v13, v10
.LBB22_6:
	s_or_b64 exec, exec, s[2:3]
	s_waitcnt lgkmcnt(0)
	s_barrier
	s_load_dword s17, s[0:1], 0x3c
	v_mov_b32_e32 v10, 0
	v_lshlrev_b32_e32 v14, 2, v7
	s_waitcnt lgkmcnt(0)
	s_bfe_u32 s2, s17, 0xb0005
	v_cmp_gt_u32_e64 s[6:7], s2, v0
	s_and_saveexec_b64 s[2:3], s[6:7]
; %bb.7:
	ds_read_b32 v10, v14
; %bb.8:
	s_or_b64 exec, exec, s[2:3]
	s_waitcnt lgkmcnt(0)
	ds_bpermute_b32 v7, v1, v10
	v_cvt_f32_i32_e32 v12, s15
	v_cmp_eq_u32_e64 s[8:9], 0, v0
	s_waitcnt lgkmcnt(0)
	v_add_f32_e32 v7, v10, v7
	ds_bpermute_b32 v10, v5, v7
	s_waitcnt lgkmcnt(0)
	v_add_f32_e32 v7, v7, v10
	ds_bpermute_b32 v10, v8, v7
	;; [unrolled: 3-line block ×4, first 2 shown]
	s_and_saveexec_b64 s[2:3], s[8:9]
	s_cbranch_execz .LBB22_10
; %bb.9:
	s_waitcnt lgkmcnt(0)
	v_add_f32_e32 v7, v7, v10
	v_div_scale_f32 v10, s[18:19], v12, v12, v7
	v_rcp_f32_e32 v15, v10
	v_div_scale_f32 v16, vcc, v7, v12, v7
	v_fma_f32 v17, -v10, v15, 1.0
	v_fmac_f32_e32 v15, v17, v15
	v_mul_f32_e32 v17, v16, v15
	v_fma_f32 v18, -v10, v17, v16
	v_fmac_f32_e32 v17, v18, v15
	v_fma_f32 v10, -v10, v17, v16
	v_div_fmas_f32 v10, v10, v15, v17
	v_div_fixup_f32 v7, v10, v12, v7
	v_mov_b32_e32 v10, 0
	ds_write_b32 v10, v7 offset:132
.LBB22_10:
	s_or_b64 exec, exec, s[2:3]
	s_and_b32 s17, 0xffff, s17
	v_mov_b32_e32 v7, 0
	s_waitcnt lgkmcnt(0)
	v_add_u32_e32 v10, s17, v0
	s_barrier
	s_and_saveexec_b64 s[2:3], s[10:11]
	s_cbranch_execz .LBB22_12
; %bb.11:
	v_mov_b32_e32 v0, 0
	ds_read_b32 v0, v0 offset:132
	v_mov_b32_e32 v7, v3
	v_cmp_gt_u32_e32 vcc, s15, v10
	s_waitcnt lgkmcnt(0)
	v_pk_add_f32 v[16:17], v[6:7], v[0:1] op_sel_hi:[1,0] neg_lo:[0,1] neg_hi:[0,1]
	s_nop 0
	v_pk_mul_f32 v[16:17], v[16:17], v[16:17]
	s_nop 0
	v_add_f32_e32 v0, v16, v17
	v_cndmask_b32_e32 v7, v16, v0, vcc
.LBB22_12:
	s_or_b64 exec, exec, s[2:3]
	ds_bpermute_b32 v0, v1, v7
	s_waitcnt lgkmcnt(0)
	v_add_f32_e32 v0, v7, v0
	ds_bpermute_b32 v7, v5, v0
	s_waitcnt lgkmcnt(0)
	v_add_f32_e32 v0, v0, v7
	;; [unrolled: 3-line block ×4, first 2 shown]
	ds_bpermute_b32 v7, v11, v0
	s_and_saveexec_b64 s[2:3], s[4:5]
	s_cbranch_execz .LBB22_14
; %bb.13:
	s_waitcnt lgkmcnt(0)
	v_add_f32_e32 v0, v0, v7
	ds_write_b32 v13, v0
.LBB22_14:
	s_or_b64 exec, exec, s[2:3]
	v_mov_b32_e32 v0, 0
	s_waitcnt lgkmcnt(0)
	s_barrier
	s_and_saveexec_b64 s[2:3], s[6:7]
; %bb.15:
	ds_read_b32 v0, v14
; %bb.16:
	s_or_b64 exec, exec, s[2:3]
	s_waitcnt lgkmcnt(0)
	ds_bpermute_b32 v1, v1, v0
	s_waitcnt lgkmcnt(0)
	v_add_f32_e32 v0, v0, v1
	ds_bpermute_b32 v1, v5, v0
	s_waitcnt lgkmcnt(0)
	v_add_f32_e32 v0, v0, v1
	;; [unrolled: 3-line block ×4, first 2 shown]
	ds_bpermute_b32 v1, v11, v0
	s_and_saveexec_b64 s[2:3], s[8:9]
	s_cbranch_execz .LBB22_18
; %bb.17:
	s_waitcnt lgkmcnt(0)
	v_add_f32_e32 v0, v0, v1
	v_div_scale_f32 v1, s[4:5], v12, v12, v0
	v_rcp_f32_e32 v5, v1
	v_div_scale_f32 v7, vcc, v0, v12, v0
	v_fma_f32 v8, -v1, v5, 1.0
	v_fmac_f32_e32 v5, v8, v5
	v_mul_f32_e32 v8, v7, v5
	v_fma_f32 v9, -v1, v8, v7
	v_fmac_f32_e32 v8, v9, v5
	v_fma_f32 v1, -v1, v8, v7
	v_div_fmas_f32 v1, v1, v5, v8
	v_div_fixup_f32 v0, v1, v12, v0
	v_add_f32_e32 v0, s14, v0
	v_mov_b32_e32 v1, 0
	ds_write_b32 v1, v0 offset:128
.LBB22_18:
	s_or_b64 exec, exec, s[2:3]
	s_waitcnt lgkmcnt(0)
	s_barrier
	s_and_saveexec_b64 s[2:3], s[10:11]
	s_cbranch_execz .LBB22_21
; %bb.19:
	s_load_dwordx4 s[4:7], s[0:1], 0x18
	v_mov_b32_e32 v1, 0
	s_mov_b32 s0, 0x800000
	s_waitcnt lgkmcnt(0)
	global_load_ushort v5, v4, s[4:5]
	global_load_ushort v7, v4, s[6:7]
	ds_read_b64 v[8:9], v1 offset:128
	s_waitcnt lgkmcnt(0)
	v_mul_f32_e32 v0, 0x4b800000, v8
	v_cmp_gt_f32_e32 vcc, s0, v8
	s_waitcnt vmcnt(1)
	v_lshlrev_b32_e32 v5, 16, v5
	v_cndmask_b32_e32 v0, v8, v0, vcc
	v_rsq_f32_e32 v8, v0
	v_mov_b32_e32 v0, v2
	v_lshl_add_u64 v[12:13], v[0:1], 1, s[12:13]
	v_sub_f32_e32 v0, v6, v9
	v_mul_f32_e32 v2, 0x45800000, v8
	v_cndmask_b32_e32 v2, v8, v2, vcc
	v_mul_f32_e32 v0, v0, v2
	s_waitcnt vmcnt(0)
	v_lshlrev_b32_e32 v6, 16, v7
	v_fmac_f32_e32 v6, v0, v5
	v_cvt_pk_bf16_f32 v0, v6, s0
	v_cmp_gt_u32_e32 vcc, s15, v10
	global_store_short v[12:13], v0, off
	s_and_b64 exec, exec, vcc
	s_cbranch_execz .LBB22_21
; %bb.20:
	v_mov_b32_e32 v5, v1
	v_lshl_add_u64 v[6:7], s[4:5], 0, v[4:5]
	v_lshl_add_u64 v[4:5], s[6:7], 0, v[4:5]
	s_lshl_b32 s0, s17, 1
	s_mov_b32 s1, 0
	v_lshl_add_u64 v[6:7], v[6:7], 0, s[0:1]
	v_lshl_add_u64 v[4:5], v[4:5], 0, s[0:1]
	global_load_ushort v6, v[6:7], off
	v_sub_f32_e32 v3, v3, v9
	global_load_ushort v4, v[4:5], off
	v_mul_f32_e32 v2, v3, v2
	v_add_u32_e32 v0, s16, v10
	v_lshl_add_u64 v[0:1], v[0:1], 1, s[12:13]
	s_waitcnt vmcnt(1)
	v_lshlrev_b32_e32 v3, 16, v6
	s_waitcnt vmcnt(0)
	v_lshlrev_b32_e32 v4, 16, v4
	v_fmac_f32_e32 v4, v2, v3
	v_cvt_pk_bf16_f32 v2, v4, s0
	global_store_short v[0:1], v2, off
.LBB22_21:
	s_endpgm
	.section	.rodata,"a",@progbits
	.p2align	6, 0x0
	.amdhsa_kernel _Z28addBiasResidualPostLayerNormI14__hip_bfloat16Li2ELi32EEvPT_PKS1_S4_S4_S4_fi
		.amdhsa_group_segment_fixed_size 136
		.amdhsa_private_segment_fixed_size 0
		.amdhsa_kernarg_size 304
		.amdhsa_user_sgpr_count 2
		.amdhsa_user_sgpr_dispatch_ptr 0
		.amdhsa_user_sgpr_queue_ptr 0
		.amdhsa_user_sgpr_kernarg_segment_ptr 1
		.amdhsa_user_sgpr_dispatch_id 0
		.amdhsa_user_sgpr_kernarg_preload_length 0
		.amdhsa_user_sgpr_kernarg_preload_offset 0
		.amdhsa_user_sgpr_private_segment_size 0
		.amdhsa_uses_dynamic_stack 0
		.amdhsa_enable_private_segment 0
		.amdhsa_system_sgpr_workgroup_id_x 1
		.amdhsa_system_sgpr_workgroup_id_y 0
		.amdhsa_system_sgpr_workgroup_id_z 0
		.amdhsa_system_sgpr_workgroup_info 0
		.amdhsa_system_vgpr_workitem_id 0
		.amdhsa_next_free_vgpr 19
		.amdhsa_next_free_sgpr 20
		.amdhsa_accum_offset 20
		.amdhsa_reserve_vcc 1
		.amdhsa_float_round_mode_32 0
		.amdhsa_float_round_mode_16_64 0
		.amdhsa_float_denorm_mode_32 3
		.amdhsa_float_denorm_mode_16_64 3
		.amdhsa_dx10_clamp 1
		.amdhsa_ieee_mode 1
		.amdhsa_fp16_overflow 0
		.amdhsa_tg_split 0
		.amdhsa_exception_fp_ieee_invalid_op 0
		.amdhsa_exception_fp_denorm_src 0
		.amdhsa_exception_fp_ieee_div_zero 0
		.amdhsa_exception_fp_ieee_overflow 0
		.amdhsa_exception_fp_ieee_underflow 0
		.amdhsa_exception_fp_ieee_inexact 0
		.amdhsa_exception_int_div_zero 0
	.end_amdhsa_kernel
	.section	.text._Z28addBiasResidualPostLayerNormI14__hip_bfloat16Li2ELi32EEvPT_PKS1_S4_S4_S4_fi,"axG",@progbits,_Z28addBiasResidualPostLayerNormI14__hip_bfloat16Li2ELi32EEvPT_PKS1_S4_S4_S4_fi,comdat
.Lfunc_end22:
	.size	_Z28addBiasResidualPostLayerNormI14__hip_bfloat16Li2ELi32EEvPT_PKS1_S4_S4_S4_fi, .Lfunc_end22-_Z28addBiasResidualPostLayerNormI14__hip_bfloat16Li2ELi32EEvPT_PKS1_S4_S4_S4_fi
                                        ; -- End function
	.set _Z28addBiasResidualPostLayerNormI14__hip_bfloat16Li2ELi32EEvPT_PKS1_S4_S4_S4_fi.num_vgpr, 19
	.set _Z28addBiasResidualPostLayerNormI14__hip_bfloat16Li2ELi32EEvPT_PKS1_S4_S4_S4_fi.num_agpr, 0
	.set _Z28addBiasResidualPostLayerNormI14__hip_bfloat16Li2ELi32EEvPT_PKS1_S4_S4_S4_fi.numbered_sgpr, 20
	.set _Z28addBiasResidualPostLayerNormI14__hip_bfloat16Li2ELi32EEvPT_PKS1_S4_S4_S4_fi.num_named_barrier, 0
	.set _Z28addBiasResidualPostLayerNormI14__hip_bfloat16Li2ELi32EEvPT_PKS1_S4_S4_S4_fi.private_seg_size, 0
	.set _Z28addBiasResidualPostLayerNormI14__hip_bfloat16Li2ELi32EEvPT_PKS1_S4_S4_S4_fi.uses_vcc, 1
	.set _Z28addBiasResidualPostLayerNormI14__hip_bfloat16Li2ELi32EEvPT_PKS1_S4_S4_S4_fi.uses_flat_scratch, 0
	.set _Z28addBiasResidualPostLayerNormI14__hip_bfloat16Li2ELi32EEvPT_PKS1_S4_S4_S4_fi.has_dyn_sized_stack, 0
	.set _Z28addBiasResidualPostLayerNormI14__hip_bfloat16Li2ELi32EEvPT_PKS1_S4_S4_S4_fi.has_recursion, 0
	.set _Z28addBiasResidualPostLayerNormI14__hip_bfloat16Li2ELi32EEvPT_PKS1_S4_S4_S4_fi.has_indirect_call, 0
	.section	.AMDGPU.csdata,"",@progbits
; Kernel info:
; codeLenInByte = 1536
; TotalNumSgprs: 26
; NumVgprs: 19
; NumAgprs: 0
; TotalNumVgprs: 19
; ScratchSize: 0
; MemoryBound: 0
; FloatMode: 240
; IeeeMode: 1
; LDSByteSize: 136 bytes/workgroup (compile time only)
; SGPRBlocks: 3
; VGPRBlocks: 2
; NumSGPRsForWavesPerEU: 26
; NumVGPRsForWavesPerEU: 19
; AccumOffset: 20
; Occupancy: 8
; WaveLimiterHint : 0
; COMPUTE_PGM_RSRC2:SCRATCH_EN: 0
; COMPUTE_PGM_RSRC2:USER_SGPR: 2
; COMPUTE_PGM_RSRC2:TRAP_HANDLER: 0
; COMPUTE_PGM_RSRC2:TGID_X_EN: 1
; COMPUTE_PGM_RSRC2:TGID_Y_EN: 0
; COMPUTE_PGM_RSRC2:TGID_Z_EN: 0
; COMPUTE_PGM_RSRC2:TIDIG_COMP_CNT: 0
; COMPUTE_PGM_RSRC3_GFX90A:ACCUM_OFFSET: 4
; COMPUTE_PGM_RSRC3_GFX90A:TG_SPLIT: 0
	.section	.text._Z35generalAddBiasResidualPostLayerNormI14__hip_bfloat16Li32EEvPT_PKS1_S4_S4_S4_fi,"axG",@progbits,_Z35generalAddBiasResidualPostLayerNormI14__hip_bfloat16Li32EEvPT_PKS1_S4_S4_S4_fi,comdat
	.protected	_Z35generalAddBiasResidualPostLayerNormI14__hip_bfloat16Li32EEvPT_PKS1_S4_S4_S4_fi ; -- Begin function _Z35generalAddBiasResidualPostLayerNormI14__hip_bfloat16Li32EEvPT_PKS1_S4_S4_S4_fi
	.globl	_Z35generalAddBiasResidualPostLayerNormI14__hip_bfloat16Li32EEvPT_PKS1_S4_S4_S4_fi
	.p2align	8
	.type	_Z35generalAddBiasResidualPostLayerNormI14__hip_bfloat16Li32EEvPT_PKS1_S4_S4_S4_fi,@function
_Z35generalAddBiasResidualPostLayerNormI14__hip_bfloat16Li32EEvPT_PKS1_S4_S4_S4_fi: ; @_Z35generalAddBiasResidualPostLayerNormI14__hip_bfloat16Li32EEvPT_PKS1_S4_S4_S4_fi
; %bb.0:
	s_load_dwordx2 s[16:17], s[0:1], 0x28
	s_load_dwordx2 s[10:11], s[0:1], 0x0
	v_mov_b32_e32 v3, 0
	s_waitcnt lgkmcnt(0)
	s_lshr_b32 s3, s17, 31
	s_add_i32 s3, s17, s3
	s_ashr_i32 s20, s3, 1
	v_cmp_gt_i32_e64 s[8:9], s20, v0
	s_mul_i32 s21, s17, s2
	s_and_saveexec_b64 s[2:3], s[8:9]
	s_cbranch_execz .LBB23_4
; %bb.1:
	s_load_dword s12, s[0:1], 0x3c
	s_load_dwordx4 s[4:7], s[0:1], 0x8
	v_lshlrev_b32_e32 v2, 2, v0
	v_mov_b32_e32 v3, 0
	s_lshr_b32 s14, s21, 1
	s_waitcnt lgkmcnt(0)
	s_and_b32 s15, s12, 0xffff
	s_mov_b32 s13, 0
	v_lshl_add_u64 v[4:5], s[6:7], 0, v[2:3]
	s_lshl_b32 s12, s15, 2
	s_mov_b64 s[6:7], 0
	v_mov_b32_e32 v1, v0
.LBB23_2:                               ; =>This Inner Loop Header: Depth=1
	v_add_u32_e32 v6, s14, v1
	v_ashrrev_i32_e32 v7, 31, v6
	v_lshlrev_b64 v[6:7], 2, v[6:7]
	v_lshl_add_u64 v[8:9], s[10:11], 0, v[6:7]
	v_lshl_add_u64 v[6:7], s[4:5], 0, v[6:7]
	global_load_dword v2, v[6:7], off
	global_load_dword v10, v[8:9], off
	;; [unrolled: 1-line block ×3, first 2 shown]
	v_add_u32_e32 v1, s15, v1
	v_cmp_le_i32_e32 vcc, s20, v1
	v_lshl_add_u64 v[4:5], v[4:5], 0, s[12:13]
	s_or_b64 s[6:7], vcc, s[6:7]
	s_waitcnt vmcnt(1)
	v_lshlrev_b32_e32 v12, 16, v10
	s_waitcnt vmcnt(0)
	v_and_b32_e32 v6, 0xffff0000, v11
	v_lshlrev_b32_e32 v7, 16, v11
	v_lshlrev_b32_e32 v11, 16, v2
	v_and_b32_e32 v2, 0xffff0000, v2
	v_and_b32_e32 v10, 0xffff0000, v10
	v_add_f32_e32 v11, v12, v11
	v_add_f32_e32 v2, v10, v2
	v_cvt_pk_bf16_f32 v10, v11, s0
	v_cvt_pk_bf16_f32 v2, v2, s0
	v_lshlrev_b32_e32 v2, 16, v2
	v_lshlrev_b32_e32 v10, 16, v10
	v_add_f32_e32 v2, v2, v6
	v_add_f32_e32 v6, v10, v7
	v_cvt_pk_bf16_f32 v7, v6, v2
	v_cvt_pk_bf16_f32 v6, v6, s0
	;; [unrolled: 1-line block ×3, first 2 shown]
	v_lshlrev_b32_e32 v6, 16, v6
	v_lshlrev_b32_e32 v2, 16, v2
	v_add_f32_e32 v3, v3, v6
	v_add_f32_e32 v3, v3, v2
	global_store_dword v[8:9], v7, off
	s_andn2_b64 exec, exec, s[6:7]
	s_cbranch_execnz .LBB23_2
; %bb.3:
	s_or_b64 exec, exec, s[6:7]
.LBB23_4:
	s_or_b64 exec, exec, s[2:3]
	v_mbcnt_lo_u32_b32 v1, -1, 0
	v_mbcnt_hi_u32_b32 v2, -1, v1
	v_and_b32_e32 v1, 0x60, v2
	v_add_u32_e32 v7, 32, v1
	v_xor_b32_e32 v1, 16, v2
	v_cmp_lt_i32_e32 vcc, v1, v7
	v_xor_b32_e32 v5, 8, v2
	v_xor_b32_e32 v6, 4, v2
	v_cndmask_b32_e32 v1, v2, v1, vcc
	v_lshlrev_b32_e32 v1, 2, v1
	ds_bpermute_b32 v4, v1, v3
	v_cmp_lt_i32_e32 vcc, v5, v7
	v_xor_b32_e32 v8, 2, v2
	v_xor_b32_e32 v9, 1, v2
	s_load_dwordx4 s[12:15], s[0:1], 0x18
	s_waitcnt lgkmcnt(0)
	v_add_f32_e32 v3, v3, v4
	v_cndmask_b32_e32 v4, v2, v5, vcc
	v_lshlrev_b32_e32 v4, 2, v4
	ds_bpermute_b32 v5, v4, v3
	v_cmp_lt_i32_e32 vcc, v6, v7
	s_waitcnt lgkmcnt(0)
	v_add_f32_e32 v3, v3, v5
	v_cndmask_b32_e32 v5, v2, v6, vcc
	v_lshlrev_b32_e32 v5, 2, v5
	ds_bpermute_b32 v6, v5, v3
	v_cmp_lt_i32_e32 vcc, v8, v7
	;; [unrolled: 6-line block ×3, first 2 shown]
	s_waitcnt lgkmcnt(0)
	v_add_f32_e32 v3, v3, v8
	v_cndmask_b32_e32 v2, v2, v9, vcc
	v_lshlrev_b32_e32 v7, 2, v2
	ds_bpermute_b32 v8, v7, v3
	v_and_b32_e32 v2, 31, v0
	v_cmp_eq_u32_e64 s[4:5], 0, v2
	v_lshrrev_b32_e32 v9, 3, v0
	s_and_saveexec_b64 s[2:3], s[4:5]
	s_cbranch_execz .LBB23_6
; %bb.5:
	s_waitcnt lgkmcnt(0)
	v_add_f32_e32 v3, v3, v8
	ds_write_b32 v9, v3
.LBB23_6:
	s_or_b64 exec, exec, s[2:3]
	s_waitcnt lgkmcnt(0)
	s_barrier
	s_load_dword s18, s[0:1], 0x3c
	v_mov_b32_e32 v3, 0
	v_lshlrev_b32_e32 v10, 2, v2
	s_waitcnt lgkmcnt(0)
	s_bfe_u32 s0, s18, 0xb0005
	v_cmp_gt_u32_e64 s[0:1], s0, v0
	s_and_saveexec_b64 s[2:3], s[0:1]
; %bb.7:
	ds_read_b32 v3, v10
; %bb.8:
	s_or_b64 exec, exec, s[2:3]
	s_waitcnt lgkmcnt(0)
	ds_bpermute_b32 v2, v1, v3
	v_cvt_f32_i32_e32 v8, s17
	v_cmp_eq_u32_e64 s[6:7], 0, v0
	s_waitcnt lgkmcnt(0)
	v_add_f32_e32 v2, v3, v2
	ds_bpermute_b32 v3, v4, v2
	s_waitcnt lgkmcnt(0)
	v_add_f32_e32 v2, v2, v3
	ds_bpermute_b32 v3, v5, v2
	;; [unrolled: 3-line block ×4, first 2 shown]
	s_and_saveexec_b64 s[2:3], s[6:7]
	s_cbranch_execz .LBB23_10
; %bb.9:
	s_waitcnt lgkmcnt(0)
	v_add_f32_e32 v2, v2, v3
	v_div_scale_f32 v3, s[22:23], v8, v8, v2
	v_rcp_f32_e32 v11, v3
	v_div_scale_f32 v12, vcc, v2, v8, v2
	v_fma_f32 v13, -v3, v11, 1.0
	v_fmac_f32_e32 v11, v13, v11
	v_mul_f32_e32 v13, v12, v11
	v_fma_f32 v14, -v3, v13, v12
	v_fmac_f32_e32 v13, v14, v11
	v_fma_f32 v3, -v3, v13, v12
	v_div_fmas_f32 v3, v3, v11, v13
	v_div_fixup_f32 v2, v3, v8, v2
	v_mov_b32_e32 v3, 0
	ds_write_b32 v3, v2 offset:132
.LBB23_10:
	s_or_b64 exec, exec, s[2:3]
	s_and_b32 s17, 0xffff, s18
	v_mov_b32_e32 v11, 0
	s_waitcnt lgkmcnt(0)
	s_barrier
	s_and_saveexec_b64 s[2:3], s[8:9]
	s_cbranch_execz .LBB23_14
; %bb.11:
	v_mov_b32_e32 v11, 0
	ds_read_b32 v2, v11 offset:132
	s_lshr_b32 s22, s21, 1
	s_mov_b64 s[18:19], 0
	v_mov_b32_e32 v12, v0
	s_waitcnt lgkmcnt(0)
	v_mov_b32_e32 v3, v2
.LBB23_12:                              ; =>This Inner Loop Header: Depth=1
	v_add_u32_e32 v14, s22, v12
	v_ashrrev_i32_e32 v15, 31, v14
	v_lshl_add_u64 v[14:15], v[14:15], 2, s[10:11]
	global_load_dword v13, v[14:15], off
	v_add_u32_e32 v12, s17, v12
	v_cmp_le_i32_e32 vcc, s20, v12
	s_or_b64 s[18:19], vcc, s[18:19]
	s_waitcnt vmcnt(0)
	v_and_b32_e32 v15, 0xffff0000, v13
	v_lshlrev_b32_e32 v14, 16, v13
	v_pk_add_f32 v[14:15], v[14:15], v[2:3] neg_lo:[0,1] neg_hi:[0,1]
	s_nop 0
	v_pk_mul_f32 v[14:15], v[14:15], v[14:15]
	s_nop 0
	v_add_f32_e32 v11, v11, v14
	v_add_f32_e32 v11, v15, v11
	s_andn2_b64 exec, exec, s[18:19]
	s_cbranch_execnz .LBB23_12
; %bb.13:
	s_or_b64 exec, exec, s[18:19]
.LBB23_14:
	s_or_b64 exec, exec, s[2:3]
	ds_bpermute_b32 v2, v1, v11
	s_waitcnt lgkmcnt(0)
	v_add_f32_e32 v2, v11, v2
	ds_bpermute_b32 v3, v4, v2
	s_waitcnt lgkmcnt(0)
	v_add_f32_e32 v2, v2, v3
	;; [unrolled: 3-line block ×4, first 2 shown]
	ds_bpermute_b32 v3, v7, v2
	s_and_saveexec_b64 s[2:3], s[4:5]
	s_cbranch_execz .LBB23_16
; %bb.15:
	s_waitcnt lgkmcnt(0)
	v_add_f32_e32 v2, v2, v3
	ds_write_b32 v9, v2
.LBB23_16:
	s_or_b64 exec, exec, s[2:3]
	v_mov_b32_e32 v2, 0
	s_waitcnt lgkmcnt(0)
	s_barrier
	s_and_saveexec_b64 s[2:3], s[0:1]
; %bb.17:
	ds_read_b32 v2, v10
; %bb.18:
	s_or_b64 exec, exec, s[2:3]
	s_waitcnt lgkmcnt(0)
	ds_bpermute_b32 v1, v1, v2
	s_waitcnt lgkmcnt(0)
	v_add_f32_e32 v1, v2, v1
	ds_bpermute_b32 v2, v4, v1
	s_waitcnt lgkmcnt(0)
	v_add_f32_e32 v1, v1, v2
	;; [unrolled: 3-line block ×4, first 2 shown]
	ds_bpermute_b32 v2, v7, v1
	s_and_saveexec_b64 s[0:1], s[6:7]
	s_cbranch_execz .LBB23_20
; %bb.19:
	s_waitcnt lgkmcnt(0)
	v_add_f32_e32 v1, v1, v2
	v_div_scale_f32 v2, s[2:3], v8, v8, v1
	v_rcp_f32_e32 v3, v2
	v_div_scale_f32 v4, vcc, v1, v8, v1
	s_mov_b32 s2, 0x800000
	v_fma_f32 v5, -v2, v3, 1.0
	v_fmac_f32_e32 v3, v5, v3
	v_mul_f32_e32 v5, v4, v3
	v_fma_f32 v6, -v2, v5, v4
	v_fmac_f32_e32 v5, v6, v3
	v_fma_f32 v2, -v2, v5, v4
	v_div_fmas_f32 v2, v2, v3, v5
	v_div_fixup_f32 v1, v2, v8, v1
	v_add_f32_e32 v1, s16, v1
	v_mul_f32_e32 v2, 0x4b800000, v1
	v_cmp_gt_f32_e32 vcc, s2, v1
	s_nop 1
	v_cndmask_b32_e32 v1, v1, v2, vcc
	v_rsq_f32_e32 v1, v1
	s_nop 0
	v_mul_f32_e32 v2, 0x45800000, v1
	v_cndmask_b32_e32 v1, v1, v2, vcc
	v_mov_b32_e32 v2, 0
	ds_write_b32 v2, v1 offset:128
.LBB23_20:
	s_or_b64 exec, exec, s[0:1]
	s_waitcnt lgkmcnt(0)
	s_barrier
	s_and_saveexec_b64 s[0:1], s[8:9]
	s_cbranch_execz .LBB23_30
; %bb.21:
	v_mov_b32_e32 v1, 0
	ds_read_b64 v[2:3], v1 offset:128
	v_add_u32_e32 v1, 1, v0
	v_max_i32_e32 v4, s20, v1
	v_sub_u32_e32 v12, v4, v0
	s_lshr_b32 s8, s21, 1
	v_cmp_gt_u32_e64 s[2:3], 10, v12
	v_cmp_lt_u32_e32 vcc, 9, v12
	s_and_saveexec_b64 s[4:5], vcc
	s_cbranch_execz .LBB23_27
; %bb.22:
	v_cvt_f32_u32_e32 v4, s17
	v_add_u32_e32 v5, s17, v0
	v_mov_b32_e32 v6, s17
	v_cmp_gt_i32_e32 vcc, s20, v5
	v_rcp_iflag_f32_e32 v4, v4
	s_cmp_eq_u32 s17, 1
	v_max_i32_e32 v7, s20, v5
	v_addc_co_u32_e64 v5, s[0:1], v0, v6, vcc
	v_mul_f32_e32 v4, 0x4f7ffffe, v4
	v_cvt_u32_f32_e32 v4, v4
	s_cselect_b64 s[6:7], -1, 0
	s_sub_i32 s0, 0, s17
	v_sub_u32_e32 v5, v7, v5
	v_mul_lo_u32 v6, s0, v4
	v_mul_hi_u32 v6, v4, v6
	v_add_u32_e32 v4, v4, v6
	v_mul_hi_u32 v4, v5, v4
	v_mul_lo_u32 v6, v4, s17
	v_sub_u32_e32 v5, v5, v6
	v_add_u32_e32 v6, 1, v4
	v_cmp_le_u32_e64 s[0:1], s17, v5
	s_nop 1
	v_cndmask_b32_e64 v4, v4, v6, s[0:1]
	v_subrev_u32_e32 v6, s17, v5
	v_cndmask_b32_e64 v5, v5, v6, s[0:1]
	v_add_u32_e32 v6, 1, v4
	v_cmp_le_u32_e64 s[0:1], s17, v5
	v_add_u32_e32 v5, s8, v0
	s_nop 0
	v_cndmask_b32_e64 v4, v4, v6, s[0:1]
	v_addc_co_u32_e32 v4, vcc, v5, v4, vcc
	v_cmp_ge_i32_e32 vcc, v4, v5
	s_and_b64 s[18:19], s[6:7], vcc
	s_mov_b64 s[6:7], -1
	s_and_saveexec_b64 s[0:1], s[18:19]
	s_cbranch_execz .LBB23_26
; %bb.23:
	v_and_b32_e32 v13, -2, v12
	s_mov_b32 s9, s8
	s_waitcnt lgkmcnt(0)
	v_mov_b32_e32 v4, v3
	v_mov_b32_e32 v5, v3
	;; [unrolled: 1-line block ×4, first 2 shown]
	s_mov_b64 s[6:7], 0
	v_mov_b32_e32 v9, 0
	s_mov_b32 s16, 0x5040100
	s_mov_b32 s18, 0x7060302
	v_mov_b32_e32 v14, v13
	v_mov_b64_e32 v[10:11], v[0:1]
.LBB23_24:                              ; =>This Inner Loop Header: Depth=1
	v_add_u32_e32 v18, s9, v11
	v_add_u32_e32 v16, s8, v10
	v_mov_b32_e32 v8, v10
	v_ashrrev_i32_e32 v19, 31, v18
	v_ashrrev_i32_e32 v17, 31, v16
	v_lshlrev_b64 v[20:21], 2, v[8:9]
	v_mov_b32_e32 v8, v11
	v_lshl_add_u64 v[18:19], v[18:19], 2, s[10:11]
	v_lshl_add_u64 v[16:17], v[16:17], 2, s[10:11]
	v_lshlrev_b64 v[24:25], 2, v[8:9]
	global_load_dword v1, v[18:19], off
	global_load_dword v8, v[16:17], off
	v_lshl_add_u64 v[26:27], s[12:13], 0, v[24:25]
	v_lshl_add_u64 v[22:23], s[12:13], 0, v[20:21]
	;; [unrolled: 1-line block ×4, first 2 shown]
	global_load_dword v15, v[26:27], off
	global_load_dword v28, v[22:23], off
	;; [unrolled: 1-line block ×4, first 2 shown]
	v_add_u32_e32 v14, -2, v14
	v_cmp_eq_u32_e32 vcc, 0, v14
	v_add_u32_e32 v10, 2, v10
	v_add_u32_e32 v11, 2, v11
	s_or_b64 s[6:7], vcc, s[6:7]
	s_waitcnt vmcnt(5)
	v_lshlrev_b32_e32 v21, 16, v1
	s_waitcnt vmcnt(4)
	v_lshlrev_b32_e32 v20, 16, v8
	v_and_b32_e32 v23, 0xffff0000, v1
	v_and_b32_e32 v22, 0xffff0000, v8
	v_pk_add_f32 v[20:21], v[20:21], v[4:5] neg_lo:[0,1] neg_hi:[0,1]
	v_pk_add_f32 v[22:23], v[22:23], v[4:5] neg_lo:[0,1] neg_hi:[0,1]
	s_waitcnt vmcnt(3)
	v_lshlrev_b32_e32 v25, 16, v15
	s_waitcnt vmcnt(2)
	v_lshlrev_b32_e32 v24, 16, v28
	v_and_b32_e32 v27, 0xffff0000, v15
	v_and_b32_e32 v26, 0xffff0000, v28
	s_waitcnt vmcnt(1)
	v_lshlrev_b32_e32 v29, 16, v30
	s_waitcnt vmcnt(0)
	v_lshlrev_b32_e32 v28, 16, v32
	v_and_b32_e32 v31, 0xffff0000, v30
	v_and_b32_e32 v30, 0xffff0000, v32
	v_pk_mul_f32 v[20:21], v[20:21], v[6:7]
	v_pk_mul_f32 v[22:23], v[22:23], v[6:7]
	v_pk_fma_f32 v[20:21], v[20:21], v[24:25], v[28:29]
	v_pk_fma_f32 v[22:23], v[22:23], v[26:27], v[30:31]
	v_cvt_pk_bf16_f32 v1, v20, v21
	v_cvt_pk_bf16_f32 v8, v22, v23
	v_perm_b32 v15, v8, v1, s16
	v_perm_b32 v1, v8, v1, s18
	global_store_dword v[16:17], v15, off
	global_store_dword v[18:19], v1, off
	s_andn2_b64 exec, exec, s[6:7]
	s_cbranch_execnz .LBB23_24
; %bb.25:
	s_or_b64 exec, exec, s[6:7]
	v_cmp_ne_u32_e32 vcc, v12, v13
	v_add_u32_e32 v0, v0, v13
	s_orn2_b64 s[6:7], vcc, exec
.LBB23_26:
	s_or_b64 exec, exec, s[0:1]
	s_andn2_b64 s[0:1], s[2:3], exec
	s_and_b64 s[2:3], s[6:7], exec
	s_or_b64 s[2:3], s[0:1], s[2:3]
.LBB23_27:
	s_or_b64 exec, exec, s[4:5]
	s_and_b64 exec, exec, s[2:3]
	s_cbranch_execz .LBB23_30
; %bb.28:
	v_mov_b32_e32 v1, 0
	s_waitcnt lgkmcnt(0)
	v_mov_b32_e32 v4, v3
	v_mov_b32_e32 v5, v3
	;; [unrolled: 1-line block ×3, first 2 shown]
	s_mov_b32 s1, 0
	v_lshlrev_b64 v[6:7], 2, v[0:1]
	s_lshl_b32 s0, s17, 2
	s_mov_b64 s[2:3], 0
.LBB23_29:                              ; =>This Inner Loop Header: Depth=1
	v_add_u32_e32 v8, s8, v0
	v_ashrrev_i32_e32 v9, 31, v8
	v_lshl_add_u64 v[10:11], s[12:13], 0, v[6:7]
	v_lshl_add_u64 v[8:9], v[8:9], 2, s[10:11]
	v_lshl_add_u64 v[12:13], s[14:15], 0, v[6:7]
	global_load_dword v1, v[10:11], off
	global_load_dword v14, v[8:9], off
	;; [unrolled: 1-line block ×3, first 2 shown]
	v_add_u32_e32 v0, s17, v0
	v_cmp_le_i32_e32 vcc, s20, v0
	v_lshl_add_u64 v[6:7], v[6:7], 0, s[0:1]
	s_or_b64 s[2:3], vcc, s[2:3]
	s_waitcnt vmcnt(2)
	v_and_b32_e32 v11, 0xffff0000, v1
	s_waitcnt vmcnt(0)
	v_and_b32_e32 v13, 0xffff0000, v15
	v_lshlrev_b32_e32 v12, 16, v15
	v_and_b32_e32 v15, 0xffff0000, v14
	v_lshlrev_b32_e32 v14, 16, v14
	v_pk_add_f32 v[14:15], v[14:15], v[4:5] neg_lo:[0,1] neg_hi:[0,1]
	v_lshlrev_b32_e32 v10, 16, v1
	v_pk_mul_f32 v[14:15], v[14:15], v[2:3]
	s_nop 0
	v_pk_fma_f32 v[10:11], v[14:15], v[10:11], v[12:13]
	s_nop 0
	v_cvt_pk_bf16_f32 v1, v10, v11
	global_store_dword v[8:9], v1, off
	s_andn2_b64 exec, exec, s[2:3]
	s_cbranch_execnz .LBB23_29
.LBB23_30:
	s_endpgm
	.section	.rodata,"a",@progbits
	.p2align	6, 0x0
	.amdhsa_kernel _Z35generalAddBiasResidualPostLayerNormI14__hip_bfloat16Li32EEvPT_PKS1_S4_S4_S4_fi
		.amdhsa_group_segment_fixed_size 136
		.amdhsa_private_segment_fixed_size 0
		.amdhsa_kernarg_size 304
		.amdhsa_user_sgpr_count 2
		.amdhsa_user_sgpr_dispatch_ptr 0
		.amdhsa_user_sgpr_queue_ptr 0
		.amdhsa_user_sgpr_kernarg_segment_ptr 1
		.amdhsa_user_sgpr_dispatch_id 0
		.amdhsa_user_sgpr_kernarg_preload_length 0
		.amdhsa_user_sgpr_kernarg_preload_offset 0
		.amdhsa_user_sgpr_private_segment_size 0
		.amdhsa_uses_dynamic_stack 0
		.amdhsa_enable_private_segment 0
		.amdhsa_system_sgpr_workgroup_id_x 1
		.amdhsa_system_sgpr_workgroup_id_y 0
		.amdhsa_system_sgpr_workgroup_id_z 0
		.amdhsa_system_sgpr_workgroup_info 0
		.amdhsa_system_vgpr_workitem_id 0
		.amdhsa_next_free_vgpr 33
		.amdhsa_next_free_sgpr 24
		.amdhsa_accum_offset 36
		.amdhsa_reserve_vcc 1
		.amdhsa_float_round_mode_32 0
		.amdhsa_float_round_mode_16_64 0
		.amdhsa_float_denorm_mode_32 3
		.amdhsa_float_denorm_mode_16_64 3
		.amdhsa_dx10_clamp 1
		.amdhsa_ieee_mode 1
		.amdhsa_fp16_overflow 0
		.amdhsa_tg_split 0
		.amdhsa_exception_fp_ieee_invalid_op 0
		.amdhsa_exception_fp_denorm_src 0
		.amdhsa_exception_fp_ieee_div_zero 0
		.amdhsa_exception_fp_ieee_overflow 0
		.amdhsa_exception_fp_ieee_underflow 0
		.amdhsa_exception_fp_ieee_inexact 0
		.amdhsa_exception_int_div_zero 0
	.end_amdhsa_kernel
	.section	.text._Z35generalAddBiasResidualPostLayerNormI14__hip_bfloat16Li32EEvPT_PKS1_S4_S4_S4_fi,"axG",@progbits,_Z35generalAddBiasResidualPostLayerNormI14__hip_bfloat16Li32EEvPT_PKS1_S4_S4_S4_fi,comdat
.Lfunc_end23:
	.size	_Z35generalAddBiasResidualPostLayerNormI14__hip_bfloat16Li32EEvPT_PKS1_S4_S4_S4_fi, .Lfunc_end23-_Z35generalAddBiasResidualPostLayerNormI14__hip_bfloat16Li32EEvPT_PKS1_S4_S4_S4_fi
                                        ; -- End function
	.set _Z35generalAddBiasResidualPostLayerNormI14__hip_bfloat16Li32EEvPT_PKS1_S4_S4_S4_fi.num_vgpr, 33
	.set _Z35generalAddBiasResidualPostLayerNormI14__hip_bfloat16Li32EEvPT_PKS1_S4_S4_S4_fi.num_agpr, 0
	.set _Z35generalAddBiasResidualPostLayerNormI14__hip_bfloat16Li32EEvPT_PKS1_S4_S4_S4_fi.numbered_sgpr, 24
	.set _Z35generalAddBiasResidualPostLayerNormI14__hip_bfloat16Li32EEvPT_PKS1_S4_S4_S4_fi.num_named_barrier, 0
	.set _Z35generalAddBiasResidualPostLayerNormI14__hip_bfloat16Li32EEvPT_PKS1_S4_S4_S4_fi.private_seg_size, 0
	.set _Z35generalAddBiasResidualPostLayerNormI14__hip_bfloat16Li32EEvPT_PKS1_S4_S4_S4_fi.uses_vcc, 1
	.set _Z35generalAddBiasResidualPostLayerNormI14__hip_bfloat16Li32EEvPT_PKS1_S4_S4_S4_fi.uses_flat_scratch, 0
	.set _Z35generalAddBiasResidualPostLayerNormI14__hip_bfloat16Li32EEvPT_PKS1_S4_S4_S4_fi.has_dyn_sized_stack, 0
	.set _Z35generalAddBiasResidualPostLayerNormI14__hip_bfloat16Li32EEvPT_PKS1_S4_S4_S4_fi.has_recursion, 0
	.set _Z35generalAddBiasResidualPostLayerNormI14__hip_bfloat16Li32EEvPT_PKS1_S4_S4_S4_fi.has_indirect_call, 0
	.section	.AMDGPU.csdata,"",@progbits
; Kernel info:
; codeLenInByte = 2280
; TotalNumSgprs: 30
; NumVgprs: 33
; NumAgprs: 0
; TotalNumVgprs: 33
; ScratchSize: 0
; MemoryBound: 0
; FloatMode: 240
; IeeeMode: 1
; LDSByteSize: 136 bytes/workgroup (compile time only)
; SGPRBlocks: 3
; VGPRBlocks: 4
; NumSGPRsForWavesPerEU: 30
; NumVGPRsForWavesPerEU: 33
; AccumOffset: 36
; Occupancy: 8
; WaveLimiterHint : 0
; COMPUTE_PGM_RSRC2:SCRATCH_EN: 0
; COMPUTE_PGM_RSRC2:USER_SGPR: 2
; COMPUTE_PGM_RSRC2:TRAP_HANDLER: 0
; COMPUTE_PGM_RSRC2:TGID_X_EN: 1
; COMPUTE_PGM_RSRC2:TGID_Y_EN: 0
; COMPUTE_PGM_RSRC2:TGID_Z_EN: 0
; COMPUTE_PGM_RSRC2:TIDIG_COMP_CNT: 0
; COMPUTE_PGM_RSRC3_GFX90A:ACCUM_OFFSET: 8
; COMPUTE_PGM_RSRC3_GFX90A:TG_SPLIT: 0
	.section	.AMDGPU.gpr_maximums,"",@progbits
	.set amdgpu.max_num_vgpr, 0
	.set amdgpu.max_num_agpr, 0
	.set amdgpu.max_num_sgpr, 0
	.section	.AMDGPU.csdata,"",@progbits
	.type	__hip_cuid_4446abf372ebde92,@object ; @__hip_cuid_4446abf372ebde92
	.section	.bss,"aw",@nobits
	.globl	__hip_cuid_4446abf372ebde92
__hip_cuid_4446abf372ebde92:
	.byte	0                               ; 0x0
	.size	__hip_cuid_4446abf372ebde92, 1

	.ident	"AMD clang version 22.0.0git (https://github.com/RadeonOpenCompute/llvm-project roc-7.2.4 26084 f58b06dce1f9c15707c5f808fd002e18c2accf7e)"
	.section	".note.GNU-stack","",@progbits
	.addrsig
	.addrsig_sym __hip_cuid_4446abf372ebde92
	.amdgpu_metadata
---
amdhsa.kernels:
  - .agpr_count:     0
    .args:
      - .address_space:  global
        .offset:         0
        .size:           8
        .value_kind:     global_buffer
      - .actual_access:  read_only
        .address_space:  global
        .offset:         8
        .size:           8
        .value_kind:     global_buffer
      - .actual_access:  read_only
        .address_space:  global
        .offset:         16
        .size:           8
        .value_kind:     global_buffer
      - .actual_access:  read_only
        .address_space:  global
        .offset:         24
        .size:           8
        .value_kind:     global_buffer
      - .actual_access:  read_only
        .address_space:  global
        .offset:         32
        .size:           8
        .value_kind:     global_buffer
      - .offset:         40
        .size:           4
        .value_kind:     by_value
      - .offset:         44
        .size:           4
        .value_kind:     by_value
      - .offset:         48
        .size:           4
        .value_kind:     hidden_block_count_x
      - .offset:         52
        .size:           4
        .value_kind:     hidden_block_count_y
      - .offset:         56
        .size:           4
        .value_kind:     hidden_block_count_z
      - .offset:         60
        .size:           2
        .value_kind:     hidden_group_size_x
      - .offset:         62
        .size:           2
        .value_kind:     hidden_group_size_y
      - .offset:         64
        .size:           2
        .value_kind:     hidden_group_size_z
      - .offset:         66
        .size:           2
        .value_kind:     hidden_remainder_x
      - .offset:         68
        .size:           2
        .value_kind:     hidden_remainder_y
      - .offset:         70
        .size:           2
        .value_kind:     hidden_remainder_z
      - .offset:         88
        .size:           8
        .value_kind:     hidden_global_offset_x
      - .offset:         96
        .size:           8
        .value_kind:     hidden_global_offset_y
      - .offset:         104
        .size:           8
        .value_kind:     hidden_global_offset_z
      - .offset:         112
        .size:           2
        .value_kind:     hidden_grid_dims
    .group_segment_fixed_size: 72
    .kernarg_segment_align: 8
    .kernarg_segment_size: 304
    .language:       OpenCL C
    .language_version:
      - 2
      - 0
    .max_flat_workgroup_size: 1024
    .name:           _Z30addBiasResidualPostLayerNormV2IfLi64EEvPT_PKS0_S3_S3_S3_fi
    .private_segment_fixed_size: 0
    .sgpr_count:     25
    .sgpr_spill_count: 0
    .symbol:         _Z30addBiasResidualPostLayerNormV2IfLi64EEvPT_PKS0_S3_S3_S3_fi.kd
    .uniform_work_group_size: 1
    .uses_dynamic_stack: false
    .vgpr_count:     35
    .vgpr_spill_count: 0
    .wavefront_size: 64
  - .agpr_count:     0
    .args:
      - .address_space:  global
        .offset:         0
        .size:           8
        .value_kind:     global_buffer
      - .actual_access:  read_only
        .address_space:  global
        .offset:         8
        .size:           8
        .value_kind:     global_buffer
      - .actual_access:  read_only
        .address_space:  global
        .offset:         16
        .size:           8
        .value_kind:     global_buffer
      - .actual_access:  read_only
        .address_space:  global
        .offset:         24
        .size:           8
        .value_kind:     global_buffer
      - .actual_access:  read_only
        .address_space:  global
        .offset:         32
        .size:           8
        .value_kind:     global_buffer
      - .offset:         40
        .size:           4
        .value_kind:     by_value
      - .offset:         44
        .size:           4
        .value_kind:     by_value
      - .offset:         48
        .size:           4
        .value_kind:     hidden_block_count_x
      - .offset:         52
        .size:           4
        .value_kind:     hidden_block_count_y
      - .offset:         56
        .size:           4
        .value_kind:     hidden_block_count_z
      - .offset:         60
        .size:           2
        .value_kind:     hidden_group_size_x
      - .offset:         62
        .size:           2
        .value_kind:     hidden_group_size_y
      - .offset:         64
        .size:           2
        .value_kind:     hidden_group_size_z
      - .offset:         66
        .size:           2
        .value_kind:     hidden_remainder_x
      - .offset:         68
        .size:           2
        .value_kind:     hidden_remainder_y
      - .offset:         70
        .size:           2
        .value_kind:     hidden_remainder_z
      - .offset:         88
        .size:           8
        .value_kind:     hidden_global_offset_x
      - .offset:         96
        .size:           8
        .value_kind:     hidden_global_offset_y
      - .offset:         104
        .size:           8
        .value_kind:     hidden_global_offset_z
      - .offset:         112
        .size:           2
        .value_kind:     hidden_grid_dims
    .group_segment_fixed_size: 136
    .kernarg_segment_align: 8
    .kernarg_segment_size: 304
    .language:       OpenCL C
    .language_version:
      - 2
      - 0
    .max_flat_workgroup_size: 1024
    .name:           _Z30addBiasResidualPostLayerNormV2IfLi32EEvPT_PKS0_S3_S3_S3_fi
    .private_segment_fixed_size: 0
    .sgpr_count:     22
    .sgpr_spill_count: 0
    .symbol:         _Z30addBiasResidualPostLayerNormV2IfLi32EEvPT_PKS0_S3_S3_S3_fi.kd
    .uniform_work_group_size: 1
    .uses_dynamic_stack: false
    .vgpr_count:     41
    .vgpr_spill_count: 0
    .wavefront_size: 64
  - .agpr_count:     0
    .args:
      - .address_space:  global
        .offset:         0
        .size:           8
        .value_kind:     global_buffer
      - .actual_access:  read_only
        .address_space:  global
        .offset:         8
        .size:           8
        .value_kind:     global_buffer
      - .actual_access:  read_only
        .address_space:  global
        .offset:         16
        .size:           8
        .value_kind:     global_buffer
      - .actual_access:  read_only
        .address_space:  global
        .offset:         24
        .size:           8
        .value_kind:     global_buffer
      - .actual_access:  read_only
        .address_space:  global
        .offset:         32
        .size:           8
        .value_kind:     global_buffer
      - .offset:         40
        .size:           4
        .value_kind:     by_value
      - .offset:         44
        .size:           4
        .value_kind:     by_value
      - .offset:         48
        .size:           4
        .value_kind:     hidden_block_count_x
      - .offset:         52
        .size:           4
        .value_kind:     hidden_block_count_y
      - .offset:         56
        .size:           4
        .value_kind:     hidden_block_count_z
      - .offset:         60
        .size:           2
        .value_kind:     hidden_group_size_x
      - .offset:         62
        .size:           2
        .value_kind:     hidden_group_size_y
      - .offset:         64
        .size:           2
        .value_kind:     hidden_group_size_z
      - .offset:         66
        .size:           2
        .value_kind:     hidden_remainder_x
      - .offset:         68
        .size:           2
        .value_kind:     hidden_remainder_y
      - .offset:         70
        .size:           2
        .value_kind:     hidden_remainder_z
      - .offset:         88
        .size:           8
        .value_kind:     hidden_global_offset_x
      - .offset:         96
        .size:           8
        .value_kind:     hidden_global_offset_y
      - .offset:         104
        .size:           8
        .value_kind:     hidden_global_offset_z
      - .offset:         112
        .size:           2
        .value_kind:     hidden_grid_dims
    .group_segment_fixed_size: 72
    .kernarg_segment_align: 8
    .kernarg_segment_size: 304
    .language:       OpenCL C
    .language_version:
      - 2
      - 0
    .max_flat_workgroup_size: 1024
    .name:           _Z28addBiasResidualPostLayerNormIfLi1ELi64EEvPT_PKS0_S3_S3_S3_fi
    .private_segment_fixed_size: 0
    .sgpr_count:     24
    .sgpr_spill_count: 0
    .symbol:         _Z28addBiasResidualPostLayerNormIfLi1ELi64EEvPT_PKS0_S3_S3_S3_fi.kd
    .uniform_work_group_size: 1
    .uses_dynamic_stack: false
    .vgpr_count:     18
    .vgpr_spill_count: 0
    .wavefront_size: 64
  - .agpr_count:     0
    .args:
      - .address_space:  global
        .offset:         0
        .size:           8
        .value_kind:     global_buffer
      - .actual_access:  read_only
        .address_space:  global
        .offset:         8
        .size:           8
        .value_kind:     global_buffer
      - .actual_access:  read_only
        .address_space:  global
        .offset:         16
        .size:           8
        .value_kind:     global_buffer
      - .actual_access:  read_only
        .address_space:  global
        .offset:         24
        .size:           8
        .value_kind:     global_buffer
      - .actual_access:  read_only
        .address_space:  global
        .offset:         32
        .size:           8
        .value_kind:     global_buffer
      - .offset:         40
        .size:           4
        .value_kind:     by_value
      - .offset:         44
        .size:           4
        .value_kind:     by_value
      - .offset:         48
        .size:           4
        .value_kind:     hidden_block_count_x
      - .offset:         52
        .size:           4
        .value_kind:     hidden_block_count_y
      - .offset:         56
        .size:           4
        .value_kind:     hidden_block_count_z
      - .offset:         60
        .size:           2
        .value_kind:     hidden_group_size_x
      - .offset:         62
        .size:           2
        .value_kind:     hidden_group_size_y
      - .offset:         64
        .size:           2
        .value_kind:     hidden_group_size_z
      - .offset:         66
        .size:           2
        .value_kind:     hidden_remainder_x
      - .offset:         68
        .size:           2
        .value_kind:     hidden_remainder_y
      - .offset:         70
        .size:           2
        .value_kind:     hidden_remainder_z
      - .offset:         88
        .size:           8
        .value_kind:     hidden_global_offset_x
      - .offset:         96
        .size:           8
        .value_kind:     hidden_global_offset_y
      - .offset:         104
        .size:           8
        .value_kind:     hidden_global_offset_z
      - .offset:         112
        .size:           2
        .value_kind:     hidden_grid_dims
    .group_segment_fixed_size: 72
    .kernarg_segment_align: 8
    .kernarg_segment_size: 304
    .language:       OpenCL C
    .language_version:
      - 2
      - 0
    .max_flat_workgroup_size: 1024
    .name:           _Z28addBiasResidualPostLayerNormIfLi2ELi64EEvPT_PKS0_S3_S3_S3_fi
    .private_segment_fixed_size: 0
    .sgpr_count:     26
    .sgpr_spill_count: 0
    .symbol:         _Z28addBiasResidualPostLayerNormIfLi2ELi64EEvPT_PKS0_S3_S3_S3_fi.kd
    .uniform_work_group_size: 1
    .uses_dynamic_stack: false
    .vgpr_count:     20
    .vgpr_spill_count: 0
    .wavefront_size: 64
  - .agpr_count:     0
    .args:
      - .address_space:  global
        .offset:         0
        .size:           8
        .value_kind:     global_buffer
      - .actual_access:  read_only
        .address_space:  global
        .offset:         8
        .size:           8
        .value_kind:     global_buffer
      - .actual_access:  read_only
        .address_space:  global
        .offset:         16
        .size:           8
        .value_kind:     global_buffer
      - .actual_access:  read_only
        .address_space:  global
        .offset:         24
        .size:           8
        .value_kind:     global_buffer
      - .actual_access:  read_only
        .address_space:  global
        .offset:         32
        .size:           8
        .value_kind:     global_buffer
      - .offset:         40
        .size:           4
        .value_kind:     by_value
      - .offset:         44
        .size:           4
        .value_kind:     by_value
      - .offset:         48
        .size:           4
        .value_kind:     hidden_block_count_x
      - .offset:         52
        .size:           4
        .value_kind:     hidden_block_count_y
      - .offset:         56
        .size:           4
        .value_kind:     hidden_block_count_z
      - .offset:         60
        .size:           2
        .value_kind:     hidden_group_size_x
      - .offset:         62
        .size:           2
        .value_kind:     hidden_group_size_y
      - .offset:         64
        .size:           2
        .value_kind:     hidden_group_size_z
      - .offset:         66
        .size:           2
        .value_kind:     hidden_remainder_x
      - .offset:         68
        .size:           2
        .value_kind:     hidden_remainder_y
      - .offset:         70
        .size:           2
        .value_kind:     hidden_remainder_z
      - .offset:         88
        .size:           8
        .value_kind:     hidden_global_offset_x
      - .offset:         96
        .size:           8
        .value_kind:     hidden_global_offset_y
      - .offset:         104
        .size:           8
        .value_kind:     hidden_global_offset_z
      - .offset:         112
        .size:           2
        .value_kind:     hidden_grid_dims
    .group_segment_fixed_size: 72
    .kernarg_segment_align: 8
    .kernarg_segment_size: 304
    .language:       OpenCL C
    .language_version:
      - 2
      - 0
    .max_flat_workgroup_size: 1024
    .name:           _Z35generalAddBiasResidualPostLayerNormIfLi64EEvPT_PKS0_S3_S3_S3_fi
    .private_segment_fixed_size: 0
    .sgpr_count:     30
    .sgpr_spill_count: 0
    .symbol:         _Z35generalAddBiasResidualPostLayerNormIfLi64EEvPT_PKS0_S3_S3_S3_fi.kd
    .uniform_work_group_size: 1
    .uses_dynamic_stack: false
    .vgpr_count:     38
    .vgpr_spill_count: 0
    .wavefront_size: 64
  - .agpr_count:     0
    .args:
      - .address_space:  global
        .offset:         0
        .size:           8
        .value_kind:     global_buffer
      - .actual_access:  read_only
        .address_space:  global
        .offset:         8
        .size:           8
        .value_kind:     global_buffer
      - .actual_access:  read_only
        .address_space:  global
        .offset:         16
        .size:           8
        .value_kind:     global_buffer
      - .actual_access:  read_only
        .address_space:  global
        .offset:         24
        .size:           8
        .value_kind:     global_buffer
      - .actual_access:  read_only
        .address_space:  global
        .offset:         32
        .size:           8
        .value_kind:     global_buffer
      - .offset:         40
        .size:           4
        .value_kind:     by_value
      - .offset:         44
        .size:           4
        .value_kind:     by_value
      - .offset:         48
        .size:           4
        .value_kind:     hidden_block_count_x
      - .offset:         52
        .size:           4
        .value_kind:     hidden_block_count_y
      - .offset:         56
        .size:           4
        .value_kind:     hidden_block_count_z
      - .offset:         60
        .size:           2
        .value_kind:     hidden_group_size_x
      - .offset:         62
        .size:           2
        .value_kind:     hidden_group_size_y
      - .offset:         64
        .size:           2
        .value_kind:     hidden_group_size_z
      - .offset:         66
        .size:           2
        .value_kind:     hidden_remainder_x
      - .offset:         68
        .size:           2
        .value_kind:     hidden_remainder_y
      - .offset:         70
        .size:           2
        .value_kind:     hidden_remainder_z
      - .offset:         88
        .size:           8
        .value_kind:     hidden_global_offset_x
      - .offset:         96
        .size:           8
        .value_kind:     hidden_global_offset_y
      - .offset:         104
        .size:           8
        .value_kind:     hidden_global_offset_z
      - .offset:         112
        .size:           2
        .value_kind:     hidden_grid_dims
    .group_segment_fixed_size: 136
    .kernarg_segment_align: 8
    .kernarg_segment_size: 304
    .language:       OpenCL C
    .language_version:
      - 2
      - 0
    .max_flat_workgroup_size: 1024
    .name:           _Z28addBiasResidualPostLayerNormIfLi1ELi32EEvPT_PKS0_S3_S3_S3_fi
    .private_segment_fixed_size: 0
    .sgpr_count:     24
    .sgpr_spill_count: 0
    .symbol:         _Z28addBiasResidualPostLayerNormIfLi1ELi32EEvPT_PKS0_S3_S3_S3_fi.kd
    .uniform_work_group_size: 1
    .uses_dynamic_stack: false
    .vgpr_count:     17
    .vgpr_spill_count: 0
    .wavefront_size: 64
  - .agpr_count:     0
    .args:
      - .address_space:  global
        .offset:         0
        .size:           8
        .value_kind:     global_buffer
      - .actual_access:  read_only
        .address_space:  global
        .offset:         8
        .size:           8
        .value_kind:     global_buffer
      - .actual_access:  read_only
        .address_space:  global
        .offset:         16
        .size:           8
        .value_kind:     global_buffer
      - .actual_access:  read_only
        .address_space:  global
        .offset:         24
        .size:           8
        .value_kind:     global_buffer
      - .actual_access:  read_only
        .address_space:  global
        .offset:         32
        .size:           8
        .value_kind:     global_buffer
      - .offset:         40
        .size:           4
        .value_kind:     by_value
      - .offset:         44
        .size:           4
        .value_kind:     by_value
      - .offset:         48
        .size:           4
        .value_kind:     hidden_block_count_x
      - .offset:         52
        .size:           4
        .value_kind:     hidden_block_count_y
      - .offset:         56
        .size:           4
        .value_kind:     hidden_block_count_z
      - .offset:         60
        .size:           2
        .value_kind:     hidden_group_size_x
      - .offset:         62
        .size:           2
        .value_kind:     hidden_group_size_y
      - .offset:         64
        .size:           2
        .value_kind:     hidden_group_size_z
      - .offset:         66
        .size:           2
        .value_kind:     hidden_remainder_x
      - .offset:         68
        .size:           2
        .value_kind:     hidden_remainder_y
      - .offset:         70
        .size:           2
        .value_kind:     hidden_remainder_z
      - .offset:         88
        .size:           8
        .value_kind:     hidden_global_offset_x
      - .offset:         96
        .size:           8
        .value_kind:     hidden_global_offset_y
      - .offset:         104
        .size:           8
        .value_kind:     hidden_global_offset_z
      - .offset:         112
        .size:           2
        .value_kind:     hidden_grid_dims
    .group_segment_fixed_size: 136
    .kernarg_segment_align: 8
    .kernarg_segment_size: 304
    .language:       OpenCL C
    .language_version:
      - 2
      - 0
    .max_flat_workgroup_size: 1024
    .name:           _Z28addBiasResidualPostLayerNormIfLi2ELi32EEvPT_PKS0_S3_S3_S3_fi
    .private_segment_fixed_size: 0
    .sgpr_count:     26
    .sgpr_spill_count: 0
    .symbol:         _Z28addBiasResidualPostLayerNormIfLi2ELi32EEvPT_PKS0_S3_S3_S3_fi.kd
    .uniform_work_group_size: 1
    .uses_dynamic_stack: false
    .vgpr_count:     19
    .vgpr_spill_count: 0
    .wavefront_size: 64
  - .agpr_count:     0
    .args:
      - .address_space:  global
        .offset:         0
        .size:           8
        .value_kind:     global_buffer
      - .actual_access:  read_only
        .address_space:  global
        .offset:         8
        .size:           8
        .value_kind:     global_buffer
      - .actual_access:  read_only
        .address_space:  global
        .offset:         16
        .size:           8
        .value_kind:     global_buffer
      - .actual_access:  read_only
        .address_space:  global
        .offset:         24
        .size:           8
        .value_kind:     global_buffer
      - .actual_access:  read_only
        .address_space:  global
        .offset:         32
        .size:           8
        .value_kind:     global_buffer
      - .offset:         40
        .size:           4
        .value_kind:     by_value
      - .offset:         44
        .size:           4
        .value_kind:     by_value
      - .offset:         48
        .size:           4
        .value_kind:     hidden_block_count_x
      - .offset:         52
        .size:           4
        .value_kind:     hidden_block_count_y
      - .offset:         56
        .size:           4
        .value_kind:     hidden_block_count_z
      - .offset:         60
        .size:           2
        .value_kind:     hidden_group_size_x
      - .offset:         62
        .size:           2
        .value_kind:     hidden_group_size_y
      - .offset:         64
        .size:           2
        .value_kind:     hidden_group_size_z
      - .offset:         66
        .size:           2
        .value_kind:     hidden_remainder_x
      - .offset:         68
        .size:           2
        .value_kind:     hidden_remainder_y
      - .offset:         70
        .size:           2
        .value_kind:     hidden_remainder_z
      - .offset:         88
        .size:           8
        .value_kind:     hidden_global_offset_x
      - .offset:         96
        .size:           8
        .value_kind:     hidden_global_offset_y
      - .offset:         104
        .size:           8
        .value_kind:     hidden_global_offset_z
      - .offset:         112
        .size:           2
        .value_kind:     hidden_grid_dims
    .group_segment_fixed_size: 136
    .kernarg_segment_align: 8
    .kernarg_segment_size: 304
    .language:       OpenCL C
    .language_version:
      - 2
      - 0
    .max_flat_workgroup_size: 1024
    .name:           _Z35generalAddBiasResidualPostLayerNormIfLi32EEvPT_PKS0_S3_S3_S3_fi
    .private_segment_fixed_size: 0
    .sgpr_count:     30
    .sgpr_spill_count: 0
    .symbol:         _Z35generalAddBiasResidualPostLayerNormIfLi32EEvPT_PKS0_S3_S3_S3_fi.kd
    .uniform_work_group_size: 1
    .uses_dynamic_stack: false
    .vgpr_count:     38
    .vgpr_spill_count: 0
    .wavefront_size: 64
  - .agpr_count:     0
    .args:
      - .address_space:  global
        .offset:         0
        .size:           8
        .value_kind:     global_buffer
      - .actual_access:  read_only
        .address_space:  global
        .offset:         8
        .size:           8
        .value_kind:     global_buffer
      - .actual_access:  read_only
        .address_space:  global
        .offset:         16
        .size:           8
        .value_kind:     global_buffer
      - .actual_access:  read_only
        .address_space:  global
        .offset:         24
        .size:           8
        .value_kind:     global_buffer
      - .actual_access:  read_only
        .address_space:  global
        .offset:         32
        .size:           8
        .value_kind:     global_buffer
      - .offset:         40
        .size:           4
        .value_kind:     by_value
      - .offset:         44
        .size:           4
        .value_kind:     by_value
      - .offset:         48
        .size:           4
        .value_kind:     hidden_block_count_x
      - .offset:         52
        .size:           4
        .value_kind:     hidden_block_count_y
      - .offset:         56
        .size:           4
        .value_kind:     hidden_block_count_z
      - .offset:         60
        .size:           2
        .value_kind:     hidden_group_size_x
      - .offset:         62
        .size:           2
        .value_kind:     hidden_group_size_y
      - .offset:         64
        .size:           2
        .value_kind:     hidden_group_size_z
      - .offset:         66
        .size:           2
        .value_kind:     hidden_remainder_x
      - .offset:         68
        .size:           2
        .value_kind:     hidden_remainder_y
      - .offset:         70
        .size:           2
        .value_kind:     hidden_remainder_z
      - .offset:         88
        .size:           8
        .value_kind:     hidden_global_offset_x
      - .offset:         96
        .size:           8
        .value_kind:     hidden_global_offset_y
      - .offset:         104
        .size:           8
        .value_kind:     hidden_global_offset_z
      - .offset:         112
        .size:           2
        .value_kind:     hidden_grid_dims
    .group_segment_fixed_size: 72
    .kernarg_segment_align: 8
    .kernarg_segment_size: 304
    .language:       OpenCL C
    .language_version:
      - 2
      - 0
    .max_flat_workgroup_size: 1024
    .name:           _Z30addBiasResidualPostLayerNormV2I6__halfLi64EEvPT_PKS1_S4_S4_S4_fi
    .private_segment_fixed_size: 0
    .sgpr_count:     25
    .sgpr_spill_count: 0
    .symbol:         _Z30addBiasResidualPostLayerNormV2I6__halfLi64EEvPT_PKS1_S4_S4_S4_fi.kd
    .uniform_work_group_size: 1
    .uses_dynamic_stack: false
    .vgpr_count:     24
    .vgpr_spill_count: 0
    .wavefront_size: 64
  - .agpr_count:     0
    .args:
      - .address_space:  global
        .offset:         0
        .size:           8
        .value_kind:     global_buffer
      - .actual_access:  read_only
        .address_space:  global
        .offset:         8
        .size:           8
        .value_kind:     global_buffer
      - .actual_access:  read_only
        .address_space:  global
        .offset:         16
        .size:           8
        .value_kind:     global_buffer
      - .actual_access:  read_only
        .address_space:  global
        .offset:         24
        .size:           8
        .value_kind:     global_buffer
      - .actual_access:  read_only
        .address_space:  global
        .offset:         32
        .size:           8
        .value_kind:     global_buffer
      - .offset:         40
        .size:           4
        .value_kind:     by_value
      - .offset:         44
        .size:           4
        .value_kind:     by_value
      - .offset:         48
        .size:           4
        .value_kind:     hidden_block_count_x
      - .offset:         52
        .size:           4
        .value_kind:     hidden_block_count_y
      - .offset:         56
        .size:           4
        .value_kind:     hidden_block_count_z
      - .offset:         60
        .size:           2
        .value_kind:     hidden_group_size_x
      - .offset:         62
        .size:           2
        .value_kind:     hidden_group_size_y
      - .offset:         64
        .size:           2
        .value_kind:     hidden_group_size_z
      - .offset:         66
        .size:           2
        .value_kind:     hidden_remainder_x
      - .offset:         68
        .size:           2
        .value_kind:     hidden_remainder_y
      - .offset:         70
        .size:           2
        .value_kind:     hidden_remainder_z
      - .offset:         88
        .size:           8
        .value_kind:     hidden_global_offset_x
      - .offset:         96
        .size:           8
        .value_kind:     hidden_global_offset_y
      - .offset:         104
        .size:           8
        .value_kind:     hidden_global_offset_z
      - .offset:         112
        .size:           2
        .value_kind:     hidden_grid_dims
    .group_segment_fixed_size: 136
    .kernarg_segment_align: 8
    .kernarg_segment_size: 304
    .language:       OpenCL C
    .language_version:
      - 2
      - 0
    .max_flat_workgroup_size: 1024
    .name:           _Z30addBiasResidualPostLayerNormV2I6__halfLi32EEvPT_PKS1_S4_S4_S4_fi
    .private_segment_fixed_size: 0
    .sgpr_count:     22
    .sgpr_spill_count: 0
    .symbol:         _Z30addBiasResidualPostLayerNormV2I6__halfLi32EEvPT_PKS1_S4_S4_S4_fi.kd
    .uniform_work_group_size: 1
    .uses_dynamic_stack: false
    .vgpr_count:     28
    .vgpr_spill_count: 0
    .wavefront_size: 64
  - .agpr_count:     0
    .args:
      - .address_space:  global
        .offset:         0
        .size:           8
        .value_kind:     global_buffer
      - .actual_access:  read_only
        .address_space:  global
        .offset:         8
        .size:           8
        .value_kind:     global_buffer
      - .actual_access:  read_only
        .address_space:  global
        .offset:         16
        .size:           8
        .value_kind:     global_buffer
      - .actual_access:  read_only
        .address_space:  global
        .offset:         24
        .size:           8
        .value_kind:     global_buffer
      - .actual_access:  read_only
        .address_space:  global
        .offset:         32
        .size:           8
        .value_kind:     global_buffer
      - .offset:         40
        .size:           4
        .value_kind:     by_value
      - .offset:         44
        .size:           4
        .value_kind:     by_value
      - .offset:         48
        .size:           4
        .value_kind:     hidden_block_count_x
      - .offset:         52
        .size:           4
        .value_kind:     hidden_block_count_y
      - .offset:         56
        .size:           4
        .value_kind:     hidden_block_count_z
      - .offset:         60
        .size:           2
        .value_kind:     hidden_group_size_x
      - .offset:         62
        .size:           2
        .value_kind:     hidden_group_size_y
      - .offset:         64
        .size:           2
        .value_kind:     hidden_group_size_z
      - .offset:         66
        .size:           2
        .value_kind:     hidden_remainder_x
      - .offset:         68
        .size:           2
        .value_kind:     hidden_remainder_y
      - .offset:         70
        .size:           2
        .value_kind:     hidden_remainder_z
      - .offset:         88
        .size:           8
        .value_kind:     hidden_global_offset_x
      - .offset:         96
        .size:           8
        .value_kind:     hidden_global_offset_y
      - .offset:         104
        .size:           8
        .value_kind:     hidden_global_offset_z
      - .offset:         112
        .size:           2
        .value_kind:     hidden_grid_dims
    .group_segment_fixed_size: 72
    .kernarg_segment_align: 8
    .kernarg_segment_size: 304
    .language:       OpenCL C
    .language_version:
      - 2
      - 0
    .max_flat_workgroup_size: 1024
    .name:           _Z28addBiasResidualPostLayerNormI6__halfLi1ELi64EEvPT_PKS1_S4_S4_S4_fi
    .private_segment_fixed_size: 0
    .sgpr_count:     24
    .sgpr_spill_count: 0
    .symbol:         _Z28addBiasResidualPostLayerNormI6__halfLi1ELi64EEvPT_PKS1_S4_S4_S4_fi.kd
    .uniform_work_group_size: 1
    .uses_dynamic_stack: false
    .vgpr_count:     18
    .vgpr_spill_count: 0
    .wavefront_size: 64
  - .agpr_count:     0
    .args:
      - .address_space:  global
        .offset:         0
        .size:           8
        .value_kind:     global_buffer
      - .actual_access:  read_only
        .address_space:  global
        .offset:         8
        .size:           8
        .value_kind:     global_buffer
      - .actual_access:  read_only
        .address_space:  global
        .offset:         16
        .size:           8
        .value_kind:     global_buffer
      - .actual_access:  read_only
        .address_space:  global
        .offset:         24
        .size:           8
        .value_kind:     global_buffer
      - .actual_access:  read_only
        .address_space:  global
        .offset:         32
        .size:           8
        .value_kind:     global_buffer
      - .offset:         40
        .size:           4
        .value_kind:     by_value
      - .offset:         44
        .size:           4
        .value_kind:     by_value
      - .offset:         48
        .size:           4
        .value_kind:     hidden_block_count_x
      - .offset:         52
        .size:           4
        .value_kind:     hidden_block_count_y
      - .offset:         56
        .size:           4
        .value_kind:     hidden_block_count_z
      - .offset:         60
        .size:           2
        .value_kind:     hidden_group_size_x
      - .offset:         62
        .size:           2
        .value_kind:     hidden_group_size_y
      - .offset:         64
        .size:           2
        .value_kind:     hidden_group_size_z
      - .offset:         66
        .size:           2
        .value_kind:     hidden_remainder_x
      - .offset:         68
        .size:           2
        .value_kind:     hidden_remainder_y
      - .offset:         70
        .size:           2
        .value_kind:     hidden_remainder_z
      - .offset:         88
        .size:           8
        .value_kind:     hidden_global_offset_x
      - .offset:         96
        .size:           8
        .value_kind:     hidden_global_offset_y
      - .offset:         104
        .size:           8
        .value_kind:     hidden_global_offset_z
      - .offset:         112
        .size:           2
        .value_kind:     hidden_grid_dims
    .group_segment_fixed_size: 72
    .kernarg_segment_align: 8
    .kernarg_segment_size: 304
    .language:       OpenCL C
    .language_version:
      - 2
      - 0
    .max_flat_workgroup_size: 1024
    .name:           _Z28addBiasResidualPostLayerNormI6__halfLi2ELi64EEvPT_PKS1_S4_S4_S4_fi
    .private_segment_fixed_size: 0
    .sgpr_count:     26
    .sgpr_spill_count: 0
    .symbol:         _Z28addBiasResidualPostLayerNormI6__halfLi2ELi64EEvPT_PKS1_S4_S4_S4_fi.kd
    .uniform_work_group_size: 1
    .uses_dynamic_stack: false
    .vgpr_count:     20
    .vgpr_spill_count: 0
    .wavefront_size: 64
  - .agpr_count:     0
    .args:
      - .address_space:  global
        .offset:         0
        .size:           8
        .value_kind:     global_buffer
      - .actual_access:  read_only
        .address_space:  global
        .offset:         8
        .size:           8
        .value_kind:     global_buffer
      - .actual_access:  read_only
        .address_space:  global
        .offset:         16
        .size:           8
        .value_kind:     global_buffer
      - .actual_access:  read_only
        .address_space:  global
        .offset:         24
        .size:           8
        .value_kind:     global_buffer
      - .actual_access:  read_only
        .address_space:  global
        .offset:         32
        .size:           8
        .value_kind:     global_buffer
      - .offset:         40
        .size:           4
        .value_kind:     by_value
      - .offset:         44
        .size:           4
        .value_kind:     by_value
      - .offset:         48
        .size:           4
        .value_kind:     hidden_block_count_x
      - .offset:         52
        .size:           4
        .value_kind:     hidden_block_count_y
      - .offset:         56
        .size:           4
        .value_kind:     hidden_block_count_z
      - .offset:         60
        .size:           2
        .value_kind:     hidden_group_size_x
      - .offset:         62
        .size:           2
        .value_kind:     hidden_group_size_y
      - .offset:         64
        .size:           2
        .value_kind:     hidden_group_size_z
      - .offset:         66
        .size:           2
        .value_kind:     hidden_remainder_x
      - .offset:         68
        .size:           2
        .value_kind:     hidden_remainder_y
      - .offset:         70
        .size:           2
        .value_kind:     hidden_remainder_z
      - .offset:         88
        .size:           8
        .value_kind:     hidden_global_offset_x
      - .offset:         96
        .size:           8
        .value_kind:     hidden_global_offset_y
      - .offset:         104
        .size:           8
        .value_kind:     hidden_global_offset_z
      - .offset:         112
        .size:           2
        .value_kind:     hidden_grid_dims
    .group_segment_fixed_size: 72
    .kernarg_segment_align: 8
    .kernarg_segment_size: 304
    .language:       OpenCL C
    .language_version:
      - 2
      - 0
    .max_flat_workgroup_size: 1024
    .name:           _Z35generalAddBiasResidualPostLayerNormI6__halfLi64EEvPT_PKS1_S4_S4_S4_fi
    .private_segment_fixed_size: 0
    .sgpr_count:     30
    .sgpr_spill_count: 0
    .symbol:         _Z35generalAddBiasResidualPostLayerNormI6__halfLi64EEvPT_PKS1_S4_S4_S4_fi.kd
    .uniform_work_group_size: 1
    .uses_dynamic_stack: false
    .vgpr_count:     18
    .vgpr_spill_count: 0
    .wavefront_size: 64
  - .agpr_count:     0
    .args:
      - .address_space:  global
        .offset:         0
        .size:           8
        .value_kind:     global_buffer
      - .actual_access:  read_only
        .address_space:  global
        .offset:         8
        .size:           8
        .value_kind:     global_buffer
      - .actual_access:  read_only
        .address_space:  global
        .offset:         16
        .size:           8
        .value_kind:     global_buffer
      - .actual_access:  read_only
        .address_space:  global
        .offset:         24
        .size:           8
        .value_kind:     global_buffer
      - .actual_access:  read_only
        .address_space:  global
        .offset:         32
        .size:           8
        .value_kind:     global_buffer
      - .offset:         40
        .size:           4
        .value_kind:     by_value
      - .offset:         44
        .size:           4
        .value_kind:     by_value
      - .offset:         48
        .size:           4
        .value_kind:     hidden_block_count_x
      - .offset:         52
        .size:           4
        .value_kind:     hidden_block_count_y
      - .offset:         56
        .size:           4
        .value_kind:     hidden_block_count_z
      - .offset:         60
        .size:           2
        .value_kind:     hidden_group_size_x
      - .offset:         62
        .size:           2
        .value_kind:     hidden_group_size_y
      - .offset:         64
        .size:           2
        .value_kind:     hidden_group_size_z
      - .offset:         66
        .size:           2
        .value_kind:     hidden_remainder_x
      - .offset:         68
        .size:           2
        .value_kind:     hidden_remainder_y
      - .offset:         70
        .size:           2
        .value_kind:     hidden_remainder_z
      - .offset:         88
        .size:           8
        .value_kind:     hidden_global_offset_x
      - .offset:         96
        .size:           8
        .value_kind:     hidden_global_offset_y
      - .offset:         104
        .size:           8
        .value_kind:     hidden_global_offset_z
      - .offset:         112
        .size:           2
        .value_kind:     hidden_grid_dims
    .group_segment_fixed_size: 136
    .kernarg_segment_align: 8
    .kernarg_segment_size: 304
    .language:       OpenCL C
    .language_version:
      - 2
      - 0
    .max_flat_workgroup_size: 1024
    .name:           _Z28addBiasResidualPostLayerNormI6__halfLi1ELi32EEvPT_PKS1_S4_S4_S4_fi
    .private_segment_fixed_size: 0
    .sgpr_count:     24
    .sgpr_spill_count: 0
    .symbol:         _Z28addBiasResidualPostLayerNormI6__halfLi1ELi32EEvPT_PKS1_S4_S4_S4_fi.kd
    .uniform_work_group_size: 1
    .uses_dynamic_stack: false
    .vgpr_count:     17
    .vgpr_spill_count: 0
    .wavefront_size: 64
  - .agpr_count:     0
    .args:
      - .address_space:  global
        .offset:         0
        .size:           8
        .value_kind:     global_buffer
      - .actual_access:  read_only
        .address_space:  global
        .offset:         8
        .size:           8
        .value_kind:     global_buffer
      - .actual_access:  read_only
        .address_space:  global
        .offset:         16
        .size:           8
        .value_kind:     global_buffer
      - .actual_access:  read_only
        .address_space:  global
        .offset:         24
        .size:           8
        .value_kind:     global_buffer
      - .actual_access:  read_only
        .address_space:  global
        .offset:         32
        .size:           8
        .value_kind:     global_buffer
      - .offset:         40
        .size:           4
        .value_kind:     by_value
      - .offset:         44
        .size:           4
        .value_kind:     by_value
      - .offset:         48
        .size:           4
        .value_kind:     hidden_block_count_x
      - .offset:         52
        .size:           4
        .value_kind:     hidden_block_count_y
      - .offset:         56
        .size:           4
        .value_kind:     hidden_block_count_z
      - .offset:         60
        .size:           2
        .value_kind:     hidden_group_size_x
      - .offset:         62
        .size:           2
        .value_kind:     hidden_group_size_y
      - .offset:         64
        .size:           2
        .value_kind:     hidden_group_size_z
      - .offset:         66
        .size:           2
        .value_kind:     hidden_remainder_x
      - .offset:         68
        .size:           2
        .value_kind:     hidden_remainder_y
      - .offset:         70
        .size:           2
        .value_kind:     hidden_remainder_z
      - .offset:         88
        .size:           8
        .value_kind:     hidden_global_offset_x
      - .offset:         96
        .size:           8
        .value_kind:     hidden_global_offset_y
      - .offset:         104
        .size:           8
        .value_kind:     hidden_global_offset_z
      - .offset:         112
        .size:           2
        .value_kind:     hidden_grid_dims
    .group_segment_fixed_size: 136
    .kernarg_segment_align: 8
    .kernarg_segment_size: 304
    .language:       OpenCL C
    .language_version:
      - 2
      - 0
    .max_flat_workgroup_size: 1024
    .name:           _Z28addBiasResidualPostLayerNormI6__halfLi2ELi32EEvPT_PKS1_S4_S4_S4_fi
    .private_segment_fixed_size: 0
    .sgpr_count:     26
    .sgpr_spill_count: 0
    .symbol:         _Z28addBiasResidualPostLayerNormI6__halfLi2ELi32EEvPT_PKS1_S4_S4_S4_fi.kd
    .uniform_work_group_size: 1
    .uses_dynamic_stack: false
    .vgpr_count:     19
    .vgpr_spill_count: 0
    .wavefront_size: 64
  - .agpr_count:     0
    .args:
      - .address_space:  global
        .offset:         0
        .size:           8
        .value_kind:     global_buffer
      - .actual_access:  read_only
        .address_space:  global
        .offset:         8
        .size:           8
        .value_kind:     global_buffer
      - .actual_access:  read_only
        .address_space:  global
        .offset:         16
        .size:           8
        .value_kind:     global_buffer
      - .actual_access:  read_only
        .address_space:  global
        .offset:         24
        .size:           8
        .value_kind:     global_buffer
      - .actual_access:  read_only
        .address_space:  global
        .offset:         32
        .size:           8
        .value_kind:     global_buffer
      - .offset:         40
        .size:           4
        .value_kind:     by_value
      - .offset:         44
        .size:           4
        .value_kind:     by_value
      - .offset:         48
        .size:           4
        .value_kind:     hidden_block_count_x
      - .offset:         52
        .size:           4
        .value_kind:     hidden_block_count_y
      - .offset:         56
        .size:           4
        .value_kind:     hidden_block_count_z
      - .offset:         60
        .size:           2
        .value_kind:     hidden_group_size_x
      - .offset:         62
        .size:           2
        .value_kind:     hidden_group_size_y
      - .offset:         64
        .size:           2
        .value_kind:     hidden_group_size_z
      - .offset:         66
        .size:           2
        .value_kind:     hidden_remainder_x
      - .offset:         68
        .size:           2
        .value_kind:     hidden_remainder_y
      - .offset:         70
        .size:           2
        .value_kind:     hidden_remainder_z
      - .offset:         88
        .size:           8
        .value_kind:     hidden_global_offset_x
      - .offset:         96
        .size:           8
        .value_kind:     hidden_global_offset_y
      - .offset:         104
        .size:           8
        .value_kind:     hidden_global_offset_z
      - .offset:         112
        .size:           2
        .value_kind:     hidden_grid_dims
    .group_segment_fixed_size: 136
    .kernarg_segment_align: 8
    .kernarg_segment_size: 304
    .language:       OpenCL C
    .language_version:
      - 2
      - 0
    .max_flat_workgroup_size: 1024
    .name:           _Z35generalAddBiasResidualPostLayerNormI6__halfLi32EEvPT_PKS1_S4_S4_S4_fi
    .private_segment_fixed_size: 0
    .sgpr_count:     30
    .sgpr_spill_count: 0
    .symbol:         _Z35generalAddBiasResidualPostLayerNormI6__halfLi32EEvPT_PKS1_S4_S4_S4_fi.kd
    .uniform_work_group_size: 1
    .uses_dynamic_stack: false
    .vgpr_count:     16
    .vgpr_spill_count: 0
    .wavefront_size: 64
  - .agpr_count:     0
    .args:
      - .address_space:  global
        .offset:         0
        .size:           8
        .value_kind:     global_buffer
      - .actual_access:  read_only
        .address_space:  global
        .offset:         8
        .size:           8
        .value_kind:     global_buffer
      - .actual_access:  read_only
        .address_space:  global
        .offset:         16
        .size:           8
        .value_kind:     global_buffer
      - .actual_access:  read_only
        .address_space:  global
        .offset:         24
        .size:           8
        .value_kind:     global_buffer
      - .actual_access:  read_only
        .address_space:  global
        .offset:         32
        .size:           8
        .value_kind:     global_buffer
      - .offset:         40
        .size:           4
        .value_kind:     by_value
      - .offset:         44
        .size:           4
        .value_kind:     by_value
      - .offset:         48
        .size:           4
        .value_kind:     hidden_block_count_x
      - .offset:         52
        .size:           4
        .value_kind:     hidden_block_count_y
      - .offset:         56
        .size:           4
        .value_kind:     hidden_block_count_z
      - .offset:         60
        .size:           2
        .value_kind:     hidden_group_size_x
      - .offset:         62
        .size:           2
        .value_kind:     hidden_group_size_y
      - .offset:         64
        .size:           2
        .value_kind:     hidden_group_size_z
      - .offset:         66
        .size:           2
        .value_kind:     hidden_remainder_x
      - .offset:         68
        .size:           2
        .value_kind:     hidden_remainder_y
      - .offset:         70
        .size:           2
        .value_kind:     hidden_remainder_z
      - .offset:         88
        .size:           8
        .value_kind:     hidden_global_offset_x
      - .offset:         96
        .size:           8
        .value_kind:     hidden_global_offset_y
      - .offset:         104
        .size:           8
        .value_kind:     hidden_global_offset_z
      - .offset:         112
        .size:           2
        .value_kind:     hidden_grid_dims
    .group_segment_fixed_size: 72
    .kernarg_segment_align: 8
    .kernarg_segment_size: 304
    .language:       OpenCL C
    .language_version:
      - 2
      - 0
    .max_flat_workgroup_size: 1024
    .name:           _Z30addBiasResidualPostLayerNormV2I14__hip_bfloat16Li64EEvPT_PKS1_S4_S4_S4_fi
    .private_segment_fixed_size: 0
    .sgpr_count:     25
    .sgpr_spill_count: 0
    .symbol:         _Z30addBiasResidualPostLayerNormV2I14__hip_bfloat16Li64EEvPT_PKS1_S4_S4_S4_fi.kd
    .uniform_work_group_size: 1
    .uses_dynamic_stack: false
    .vgpr_count:     25
    .vgpr_spill_count: 0
    .wavefront_size: 64
  - .agpr_count:     0
    .args:
      - .address_space:  global
        .offset:         0
        .size:           8
        .value_kind:     global_buffer
      - .actual_access:  read_only
        .address_space:  global
        .offset:         8
        .size:           8
        .value_kind:     global_buffer
      - .actual_access:  read_only
        .address_space:  global
        .offset:         16
        .size:           8
        .value_kind:     global_buffer
      - .actual_access:  read_only
        .address_space:  global
        .offset:         24
        .size:           8
        .value_kind:     global_buffer
      - .actual_access:  read_only
        .address_space:  global
        .offset:         32
        .size:           8
        .value_kind:     global_buffer
      - .offset:         40
        .size:           4
        .value_kind:     by_value
      - .offset:         44
        .size:           4
        .value_kind:     by_value
      - .offset:         48
        .size:           4
        .value_kind:     hidden_block_count_x
      - .offset:         52
        .size:           4
        .value_kind:     hidden_block_count_y
      - .offset:         56
        .size:           4
        .value_kind:     hidden_block_count_z
      - .offset:         60
        .size:           2
        .value_kind:     hidden_group_size_x
      - .offset:         62
        .size:           2
        .value_kind:     hidden_group_size_y
      - .offset:         64
        .size:           2
        .value_kind:     hidden_group_size_z
      - .offset:         66
        .size:           2
        .value_kind:     hidden_remainder_x
      - .offset:         68
        .size:           2
        .value_kind:     hidden_remainder_y
      - .offset:         70
        .size:           2
        .value_kind:     hidden_remainder_z
      - .offset:         88
        .size:           8
        .value_kind:     hidden_global_offset_x
      - .offset:         96
        .size:           8
        .value_kind:     hidden_global_offset_y
      - .offset:         104
        .size:           8
        .value_kind:     hidden_global_offset_z
      - .offset:         112
        .size:           2
        .value_kind:     hidden_grid_dims
    .group_segment_fixed_size: 136
    .kernarg_segment_align: 8
    .kernarg_segment_size: 304
    .language:       OpenCL C
    .language_version:
      - 2
      - 0
    .max_flat_workgroup_size: 1024
    .name:           _Z30addBiasResidualPostLayerNormV2I14__hip_bfloat16Li32EEvPT_PKS1_S4_S4_S4_fi
    .private_segment_fixed_size: 0
    .sgpr_count:     22
    .sgpr_spill_count: 0
    .symbol:         _Z30addBiasResidualPostLayerNormV2I14__hip_bfloat16Li32EEvPT_PKS1_S4_S4_S4_fi.kd
    .uniform_work_group_size: 1
    .uses_dynamic_stack: false
    .vgpr_count:     29
    .vgpr_spill_count: 0
    .wavefront_size: 64
  - .agpr_count:     0
    .args:
      - .address_space:  global
        .offset:         0
        .size:           8
        .value_kind:     global_buffer
      - .actual_access:  read_only
        .address_space:  global
        .offset:         8
        .size:           8
        .value_kind:     global_buffer
      - .actual_access:  read_only
        .address_space:  global
        .offset:         16
        .size:           8
        .value_kind:     global_buffer
      - .actual_access:  read_only
        .address_space:  global
        .offset:         24
        .size:           8
        .value_kind:     global_buffer
      - .actual_access:  read_only
        .address_space:  global
        .offset:         32
        .size:           8
        .value_kind:     global_buffer
      - .offset:         40
        .size:           4
        .value_kind:     by_value
      - .offset:         44
        .size:           4
        .value_kind:     by_value
      - .offset:         48
        .size:           4
        .value_kind:     hidden_block_count_x
      - .offset:         52
        .size:           4
        .value_kind:     hidden_block_count_y
      - .offset:         56
        .size:           4
        .value_kind:     hidden_block_count_z
      - .offset:         60
        .size:           2
        .value_kind:     hidden_group_size_x
      - .offset:         62
        .size:           2
        .value_kind:     hidden_group_size_y
      - .offset:         64
        .size:           2
        .value_kind:     hidden_group_size_z
      - .offset:         66
        .size:           2
        .value_kind:     hidden_remainder_x
      - .offset:         68
        .size:           2
        .value_kind:     hidden_remainder_y
      - .offset:         70
        .size:           2
        .value_kind:     hidden_remainder_z
      - .offset:         88
        .size:           8
        .value_kind:     hidden_global_offset_x
      - .offset:         96
        .size:           8
        .value_kind:     hidden_global_offset_y
      - .offset:         104
        .size:           8
        .value_kind:     hidden_global_offset_z
      - .offset:         112
        .size:           2
        .value_kind:     hidden_grid_dims
    .group_segment_fixed_size: 72
    .kernarg_segment_align: 8
    .kernarg_segment_size: 304
    .language:       OpenCL C
    .language_version:
      - 2
      - 0
    .max_flat_workgroup_size: 1024
    .name:           _Z28addBiasResidualPostLayerNormI14__hip_bfloat16Li1ELi64EEvPT_PKS1_S4_S4_S4_fi
    .private_segment_fixed_size: 0
    .sgpr_count:     24
    .sgpr_spill_count: 0
    .symbol:         _Z28addBiasResidualPostLayerNormI14__hip_bfloat16Li1ELi64EEvPT_PKS1_S4_S4_S4_fi.kd
    .uniform_work_group_size: 1
    .uses_dynamic_stack: false
    .vgpr_count:     18
    .vgpr_spill_count: 0
    .wavefront_size: 64
  - .agpr_count:     0
    .args:
      - .address_space:  global
        .offset:         0
        .size:           8
        .value_kind:     global_buffer
      - .actual_access:  read_only
        .address_space:  global
        .offset:         8
        .size:           8
        .value_kind:     global_buffer
      - .actual_access:  read_only
        .address_space:  global
        .offset:         16
        .size:           8
        .value_kind:     global_buffer
      - .actual_access:  read_only
        .address_space:  global
        .offset:         24
        .size:           8
        .value_kind:     global_buffer
      - .actual_access:  read_only
        .address_space:  global
        .offset:         32
        .size:           8
        .value_kind:     global_buffer
      - .offset:         40
        .size:           4
        .value_kind:     by_value
      - .offset:         44
        .size:           4
        .value_kind:     by_value
      - .offset:         48
        .size:           4
        .value_kind:     hidden_block_count_x
      - .offset:         52
        .size:           4
        .value_kind:     hidden_block_count_y
      - .offset:         56
        .size:           4
        .value_kind:     hidden_block_count_z
      - .offset:         60
        .size:           2
        .value_kind:     hidden_group_size_x
      - .offset:         62
        .size:           2
        .value_kind:     hidden_group_size_y
      - .offset:         64
        .size:           2
        .value_kind:     hidden_group_size_z
      - .offset:         66
        .size:           2
        .value_kind:     hidden_remainder_x
      - .offset:         68
        .size:           2
        .value_kind:     hidden_remainder_y
      - .offset:         70
        .size:           2
        .value_kind:     hidden_remainder_z
      - .offset:         88
        .size:           8
        .value_kind:     hidden_global_offset_x
      - .offset:         96
        .size:           8
        .value_kind:     hidden_global_offset_y
      - .offset:         104
        .size:           8
        .value_kind:     hidden_global_offset_z
      - .offset:         112
        .size:           2
        .value_kind:     hidden_grid_dims
    .group_segment_fixed_size: 72
    .kernarg_segment_align: 8
    .kernarg_segment_size: 304
    .language:       OpenCL C
    .language_version:
      - 2
      - 0
    .max_flat_workgroup_size: 1024
    .name:           _Z28addBiasResidualPostLayerNormI14__hip_bfloat16Li2ELi64EEvPT_PKS1_S4_S4_S4_fi
    .private_segment_fixed_size: 0
    .sgpr_count:     26
    .sgpr_spill_count: 0
    .symbol:         _Z28addBiasResidualPostLayerNormI14__hip_bfloat16Li2ELi64EEvPT_PKS1_S4_S4_S4_fi.kd
    .uniform_work_group_size: 1
    .uses_dynamic_stack: false
    .vgpr_count:     20
    .vgpr_spill_count: 0
    .wavefront_size: 64
  - .agpr_count:     0
    .args:
      - .address_space:  global
        .offset:         0
        .size:           8
        .value_kind:     global_buffer
      - .actual_access:  read_only
        .address_space:  global
        .offset:         8
        .size:           8
        .value_kind:     global_buffer
      - .actual_access:  read_only
        .address_space:  global
        .offset:         16
        .size:           8
        .value_kind:     global_buffer
      - .actual_access:  read_only
        .address_space:  global
        .offset:         24
        .size:           8
        .value_kind:     global_buffer
      - .actual_access:  read_only
        .address_space:  global
        .offset:         32
        .size:           8
        .value_kind:     global_buffer
      - .offset:         40
        .size:           4
        .value_kind:     by_value
      - .offset:         44
        .size:           4
        .value_kind:     by_value
      - .offset:         48
        .size:           4
        .value_kind:     hidden_block_count_x
      - .offset:         52
        .size:           4
        .value_kind:     hidden_block_count_y
      - .offset:         56
        .size:           4
        .value_kind:     hidden_block_count_z
      - .offset:         60
        .size:           2
        .value_kind:     hidden_group_size_x
      - .offset:         62
        .size:           2
        .value_kind:     hidden_group_size_y
      - .offset:         64
        .size:           2
        .value_kind:     hidden_group_size_z
      - .offset:         66
        .size:           2
        .value_kind:     hidden_remainder_x
      - .offset:         68
        .size:           2
        .value_kind:     hidden_remainder_y
      - .offset:         70
        .size:           2
        .value_kind:     hidden_remainder_z
      - .offset:         88
        .size:           8
        .value_kind:     hidden_global_offset_x
      - .offset:         96
        .size:           8
        .value_kind:     hidden_global_offset_y
      - .offset:         104
        .size:           8
        .value_kind:     hidden_global_offset_z
      - .offset:         112
        .size:           2
        .value_kind:     hidden_grid_dims
    .group_segment_fixed_size: 72
    .kernarg_segment_align: 8
    .kernarg_segment_size: 304
    .language:       OpenCL C
    .language_version:
      - 2
      - 0
    .max_flat_workgroup_size: 1024
    .name:           _Z35generalAddBiasResidualPostLayerNormI14__hip_bfloat16Li64EEvPT_PKS1_S4_S4_S4_fi
    .private_segment_fixed_size: 0
    .sgpr_count:     30
    .sgpr_spill_count: 0
    .symbol:         _Z35generalAddBiasResidualPostLayerNormI14__hip_bfloat16Li64EEvPT_PKS1_S4_S4_S4_fi.kd
    .uniform_work_group_size: 1
    .uses_dynamic_stack: false
    .vgpr_count:     33
    .vgpr_spill_count: 0
    .wavefront_size: 64
  - .agpr_count:     0
    .args:
      - .address_space:  global
        .offset:         0
        .size:           8
        .value_kind:     global_buffer
      - .actual_access:  read_only
        .address_space:  global
        .offset:         8
        .size:           8
        .value_kind:     global_buffer
      - .actual_access:  read_only
        .address_space:  global
        .offset:         16
        .size:           8
        .value_kind:     global_buffer
      - .actual_access:  read_only
        .address_space:  global
        .offset:         24
        .size:           8
        .value_kind:     global_buffer
      - .actual_access:  read_only
        .address_space:  global
        .offset:         32
        .size:           8
        .value_kind:     global_buffer
      - .offset:         40
        .size:           4
        .value_kind:     by_value
      - .offset:         44
        .size:           4
        .value_kind:     by_value
      - .offset:         48
        .size:           4
        .value_kind:     hidden_block_count_x
      - .offset:         52
        .size:           4
        .value_kind:     hidden_block_count_y
      - .offset:         56
        .size:           4
        .value_kind:     hidden_block_count_z
      - .offset:         60
        .size:           2
        .value_kind:     hidden_group_size_x
      - .offset:         62
        .size:           2
        .value_kind:     hidden_group_size_y
      - .offset:         64
        .size:           2
        .value_kind:     hidden_group_size_z
      - .offset:         66
        .size:           2
        .value_kind:     hidden_remainder_x
      - .offset:         68
        .size:           2
        .value_kind:     hidden_remainder_y
      - .offset:         70
        .size:           2
        .value_kind:     hidden_remainder_z
      - .offset:         88
        .size:           8
        .value_kind:     hidden_global_offset_x
      - .offset:         96
        .size:           8
        .value_kind:     hidden_global_offset_y
      - .offset:         104
        .size:           8
        .value_kind:     hidden_global_offset_z
      - .offset:         112
        .size:           2
        .value_kind:     hidden_grid_dims
    .group_segment_fixed_size: 136
    .kernarg_segment_align: 8
    .kernarg_segment_size: 304
    .language:       OpenCL C
    .language_version:
      - 2
      - 0
    .max_flat_workgroup_size: 1024
    .name:           _Z28addBiasResidualPostLayerNormI14__hip_bfloat16Li1ELi32EEvPT_PKS1_S4_S4_S4_fi
    .private_segment_fixed_size: 0
    .sgpr_count:     24
    .sgpr_spill_count: 0
    .symbol:         _Z28addBiasResidualPostLayerNormI14__hip_bfloat16Li1ELi32EEvPT_PKS1_S4_S4_S4_fi.kd
    .uniform_work_group_size: 1
    .uses_dynamic_stack: false
    .vgpr_count:     17
    .vgpr_spill_count: 0
    .wavefront_size: 64
  - .agpr_count:     0
    .args:
      - .address_space:  global
        .offset:         0
        .size:           8
        .value_kind:     global_buffer
      - .actual_access:  read_only
        .address_space:  global
        .offset:         8
        .size:           8
        .value_kind:     global_buffer
      - .actual_access:  read_only
        .address_space:  global
        .offset:         16
        .size:           8
        .value_kind:     global_buffer
      - .actual_access:  read_only
        .address_space:  global
        .offset:         24
        .size:           8
        .value_kind:     global_buffer
      - .actual_access:  read_only
        .address_space:  global
        .offset:         32
        .size:           8
        .value_kind:     global_buffer
      - .offset:         40
        .size:           4
        .value_kind:     by_value
      - .offset:         44
        .size:           4
        .value_kind:     by_value
      - .offset:         48
        .size:           4
        .value_kind:     hidden_block_count_x
      - .offset:         52
        .size:           4
        .value_kind:     hidden_block_count_y
      - .offset:         56
        .size:           4
        .value_kind:     hidden_block_count_z
      - .offset:         60
        .size:           2
        .value_kind:     hidden_group_size_x
      - .offset:         62
        .size:           2
        .value_kind:     hidden_group_size_y
      - .offset:         64
        .size:           2
        .value_kind:     hidden_group_size_z
      - .offset:         66
        .size:           2
        .value_kind:     hidden_remainder_x
      - .offset:         68
        .size:           2
        .value_kind:     hidden_remainder_y
      - .offset:         70
        .size:           2
        .value_kind:     hidden_remainder_z
      - .offset:         88
        .size:           8
        .value_kind:     hidden_global_offset_x
      - .offset:         96
        .size:           8
        .value_kind:     hidden_global_offset_y
      - .offset:         104
        .size:           8
        .value_kind:     hidden_global_offset_z
      - .offset:         112
        .size:           2
        .value_kind:     hidden_grid_dims
    .group_segment_fixed_size: 136
    .kernarg_segment_align: 8
    .kernarg_segment_size: 304
    .language:       OpenCL C
    .language_version:
      - 2
      - 0
    .max_flat_workgroup_size: 1024
    .name:           _Z28addBiasResidualPostLayerNormI14__hip_bfloat16Li2ELi32EEvPT_PKS1_S4_S4_S4_fi
    .private_segment_fixed_size: 0
    .sgpr_count:     26
    .sgpr_spill_count: 0
    .symbol:         _Z28addBiasResidualPostLayerNormI14__hip_bfloat16Li2ELi32EEvPT_PKS1_S4_S4_S4_fi.kd
    .uniform_work_group_size: 1
    .uses_dynamic_stack: false
    .vgpr_count:     19
    .vgpr_spill_count: 0
    .wavefront_size: 64
  - .agpr_count:     0
    .args:
      - .address_space:  global
        .offset:         0
        .size:           8
        .value_kind:     global_buffer
      - .actual_access:  read_only
        .address_space:  global
        .offset:         8
        .size:           8
        .value_kind:     global_buffer
      - .actual_access:  read_only
        .address_space:  global
        .offset:         16
        .size:           8
        .value_kind:     global_buffer
      - .actual_access:  read_only
        .address_space:  global
        .offset:         24
        .size:           8
        .value_kind:     global_buffer
      - .actual_access:  read_only
        .address_space:  global
        .offset:         32
        .size:           8
        .value_kind:     global_buffer
      - .offset:         40
        .size:           4
        .value_kind:     by_value
      - .offset:         44
        .size:           4
        .value_kind:     by_value
      - .offset:         48
        .size:           4
        .value_kind:     hidden_block_count_x
      - .offset:         52
        .size:           4
        .value_kind:     hidden_block_count_y
      - .offset:         56
        .size:           4
        .value_kind:     hidden_block_count_z
      - .offset:         60
        .size:           2
        .value_kind:     hidden_group_size_x
      - .offset:         62
        .size:           2
        .value_kind:     hidden_group_size_y
      - .offset:         64
        .size:           2
        .value_kind:     hidden_group_size_z
      - .offset:         66
        .size:           2
        .value_kind:     hidden_remainder_x
      - .offset:         68
        .size:           2
        .value_kind:     hidden_remainder_y
      - .offset:         70
        .size:           2
        .value_kind:     hidden_remainder_z
      - .offset:         88
        .size:           8
        .value_kind:     hidden_global_offset_x
      - .offset:         96
        .size:           8
        .value_kind:     hidden_global_offset_y
      - .offset:         104
        .size:           8
        .value_kind:     hidden_global_offset_z
      - .offset:         112
        .size:           2
        .value_kind:     hidden_grid_dims
    .group_segment_fixed_size: 136
    .kernarg_segment_align: 8
    .kernarg_segment_size: 304
    .language:       OpenCL C
    .language_version:
      - 2
      - 0
    .max_flat_workgroup_size: 1024
    .name:           _Z35generalAddBiasResidualPostLayerNormI14__hip_bfloat16Li32EEvPT_PKS1_S4_S4_S4_fi
    .private_segment_fixed_size: 0
    .sgpr_count:     30
    .sgpr_spill_count: 0
    .symbol:         _Z35generalAddBiasResidualPostLayerNormI14__hip_bfloat16Li32EEvPT_PKS1_S4_S4_S4_fi.kd
    .uniform_work_group_size: 1
    .uses_dynamic_stack: false
    .vgpr_count:     33
    .vgpr_spill_count: 0
    .wavefront_size: 64
amdhsa.target:   amdgcn-amd-amdhsa--gfx950
amdhsa.version:
  - 1
  - 2
...

	.end_amdgpu_metadata
